;; amdgpu-corpus repo=ROCm/rocFFT kind=compiled arch=gfx1030 opt=O3
	.text
	.amdgcn_target "amdgcn-amd-amdhsa--gfx1030"
	.amdhsa_code_object_version 6
	.protected	fft_rtc_back_len1188_factors_6_11_2_3_3_wgs_198_tpt_66_halfLds_dp_ip_CI_sbrr_dirReg ; -- Begin function fft_rtc_back_len1188_factors_6_11_2_3_3_wgs_198_tpt_66_halfLds_dp_ip_CI_sbrr_dirReg
	.globl	fft_rtc_back_len1188_factors_6_11_2_3_3_wgs_198_tpt_66_halfLds_dp_ip_CI_sbrr_dirReg
	.p2align	8
	.type	fft_rtc_back_len1188_factors_6_11_2_3_3_wgs_198_tpt_66_halfLds_dp_ip_CI_sbrr_dirReg,@function
fft_rtc_back_len1188_factors_6_11_2_3_3_wgs_198_tpt_66_halfLds_dp_ip_CI_sbrr_dirReg: ; @fft_rtc_back_len1188_factors_6_11_2_3_3_wgs_198_tpt_66_halfLds_dp_ip_CI_sbrr_dirReg
; %bb.0:
	s_clause 0x1
	s_load_dwordx2 s[14:15], s[4:5], 0x18
	s_load_dwordx4 s[8:11], s[4:5], 0x0
	v_mul_u32_u24_e32 v1, 0x3e1, v0
	v_mov_b32_e32 v5, 0
	v_mov_b32_e32 v3, 0
	v_mov_b32_e32 v4, 0
	s_load_dwordx2 s[12:13], s[4:5], 0x50
	s_waitcnt lgkmcnt(0)
	s_load_dwordx2 s[2:3], s[14:15], 0x0
	v_lshrrev_b32_e32 v1, 16, v1
	v_cmp_lt_u64_e64 s0, s[10:11], 2
	v_mad_u64_u32 v[1:2], null, s6, 3, v[1:2]
	v_mov_b32_e32 v2, v5
	s_and_b32 vcc_lo, exec_lo, s0
	v_mov_b32_e32 v10, v2
	v_mov_b32_e32 v9, v1
	s_cbranch_vccnz .LBB0_8
; %bb.1:
	s_load_dwordx2 s[0:1], s[4:5], 0x10
	v_mov_b32_e32 v3, 0
	v_mov_b32_e32 v8, v2
	s_add_u32 s6, s14, 8
	v_mov_b32_e32 v4, 0
	v_mov_b32_e32 v7, v1
	s_addc_u32 s7, s15, 0
	s_mov_b64 s[18:19], 1
	s_waitcnt lgkmcnt(0)
	s_add_u32 s16, s0, 8
	s_addc_u32 s17, s1, 0
.LBB0_2:                                ; =>This Inner Loop Header: Depth=1
	s_load_dwordx2 s[20:21], s[16:17], 0x0
                                        ; implicit-def: $vgpr9_vgpr10
	s_mov_b32 s0, exec_lo
	s_waitcnt lgkmcnt(0)
	v_or_b32_e32 v6, s21, v8
	v_cmpx_ne_u64_e32 0, v[5:6]
	s_xor_b32 s1, exec_lo, s0
	s_cbranch_execz .LBB0_4
; %bb.3:                                ;   in Loop: Header=BB0_2 Depth=1
	v_cvt_f32_u32_e32 v2, s20
	v_cvt_f32_u32_e32 v6, s21
	s_sub_u32 s0, 0, s20
	s_subb_u32 s22, 0, s21
	v_fmac_f32_e32 v2, 0x4f800000, v6
	v_rcp_f32_e32 v2, v2
	v_mul_f32_e32 v2, 0x5f7ffffc, v2
	v_mul_f32_e32 v6, 0x2f800000, v2
	v_trunc_f32_e32 v6, v6
	v_fmac_f32_e32 v2, 0xcf800000, v6
	v_cvt_u32_f32_e32 v6, v6
	v_cvt_u32_f32_e32 v2, v2
	v_mul_lo_u32 v9, s0, v6
	v_mul_hi_u32 v10, s0, v2
	v_mul_lo_u32 v11, s22, v2
	v_add_nc_u32_e32 v9, v10, v9
	v_mul_lo_u32 v10, s0, v2
	v_add_nc_u32_e32 v9, v9, v11
	v_mul_hi_u32 v11, v2, v10
	v_mul_lo_u32 v12, v2, v9
	v_mul_hi_u32 v13, v2, v9
	v_mul_hi_u32 v14, v6, v10
	v_mul_lo_u32 v10, v6, v10
	v_mul_hi_u32 v15, v6, v9
	v_mul_lo_u32 v9, v6, v9
	v_add_co_u32 v11, vcc_lo, v11, v12
	v_add_co_ci_u32_e32 v12, vcc_lo, 0, v13, vcc_lo
	v_add_co_u32 v10, vcc_lo, v11, v10
	v_add_co_ci_u32_e32 v10, vcc_lo, v12, v14, vcc_lo
	v_add_co_ci_u32_e32 v11, vcc_lo, 0, v15, vcc_lo
	v_add_co_u32 v9, vcc_lo, v10, v9
	v_add_co_ci_u32_e32 v10, vcc_lo, 0, v11, vcc_lo
	v_add_co_u32 v2, vcc_lo, v2, v9
	v_add_co_ci_u32_e32 v6, vcc_lo, v6, v10, vcc_lo
	v_mul_hi_u32 v9, s0, v2
	v_mul_lo_u32 v11, s22, v2
	v_mul_lo_u32 v10, s0, v6
	v_add_nc_u32_e32 v9, v9, v10
	v_mul_lo_u32 v10, s0, v2
	v_add_nc_u32_e32 v9, v9, v11
	v_mul_hi_u32 v11, v2, v10
	v_mul_lo_u32 v12, v2, v9
	v_mul_hi_u32 v13, v2, v9
	v_mul_hi_u32 v14, v6, v10
	v_mul_lo_u32 v10, v6, v10
	v_mul_hi_u32 v15, v6, v9
	v_mul_lo_u32 v9, v6, v9
	v_add_co_u32 v11, vcc_lo, v11, v12
	v_add_co_ci_u32_e32 v12, vcc_lo, 0, v13, vcc_lo
	v_add_co_u32 v10, vcc_lo, v11, v10
	v_add_co_ci_u32_e32 v10, vcc_lo, v12, v14, vcc_lo
	v_add_co_ci_u32_e32 v11, vcc_lo, 0, v15, vcc_lo
	v_add_co_u32 v9, vcc_lo, v10, v9
	v_add_co_ci_u32_e32 v10, vcc_lo, 0, v11, vcc_lo
	v_add_co_u32 v2, vcc_lo, v2, v9
	v_add_co_ci_u32_e32 v6, vcc_lo, v6, v10, vcc_lo
	v_mul_hi_u32 v15, v7, v2
	v_mad_u64_u32 v[11:12], null, v8, v2, 0
	v_mad_u64_u32 v[9:10], null, v7, v6, 0
	v_mad_u64_u32 v[13:14], null, v8, v6, 0
	v_add_co_u32 v2, vcc_lo, v15, v9
	v_add_co_ci_u32_e32 v6, vcc_lo, 0, v10, vcc_lo
	v_add_co_u32 v2, vcc_lo, v2, v11
	v_add_co_ci_u32_e32 v2, vcc_lo, v6, v12, vcc_lo
	v_add_co_ci_u32_e32 v6, vcc_lo, 0, v14, vcc_lo
	v_add_co_u32 v2, vcc_lo, v2, v13
	v_add_co_ci_u32_e32 v6, vcc_lo, 0, v6, vcc_lo
	v_mul_lo_u32 v11, s21, v2
	v_mad_u64_u32 v[9:10], null, s20, v2, 0
	v_mul_lo_u32 v12, s20, v6
	v_sub_co_u32 v9, vcc_lo, v7, v9
	v_add3_u32 v10, v10, v12, v11
	v_sub_nc_u32_e32 v11, v8, v10
	v_subrev_co_ci_u32_e64 v11, s0, s21, v11, vcc_lo
	v_add_co_u32 v12, s0, v2, 2
	v_add_co_ci_u32_e64 v13, s0, 0, v6, s0
	v_sub_co_u32 v14, s0, v9, s20
	v_sub_co_ci_u32_e32 v10, vcc_lo, v8, v10, vcc_lo
	v_subrev_co_ci_u32_e64 v11, s0, 0, v11, s0
	v_cmp_le_u32_e32 vcc_lo, s20, v14
	v_cmp_eq_u32_e64 s0, s21, v10
	v_cndmask_b32_e64 v14, 0, -1, vcc_lo
	v_cmp_le_u32_e32 vcc_lo, s21, v11
	v_cndmask_b32_e64 v15, 0, -1, vcc_lo
	v_cmp_le_u32_e32 vcc_lo, s20, v9
	;; [unrolled: 2-line block ×3, first 2 shown]
	v_cndmask_b32_e64 v16, 0, -1, vcc_lo
	v_cmp_eq_u32_e32 vcc_lo, s21, v11
	v_cndmask_b32_e64 v9, v16, v9, s0
	v_cndmask_b32_e32 v11, v15, v14, vcc_lo
	v_add_co_u32 v14, vcc_lo, v2, 1
	v_add_co_ci_u32_e32 v15, vcc_lo, 0, v6, vcc_lo
	v_cmp_ne_u32_e32 vcc_lo, 0, v11
	v_cndmask_b32_e32 v10, v15, v13, vcc_lo
	v_cndmask_b32_e32 v11, v14, v12, vcc_lo
	v_cmp_ne_u32_e32 vcc_lo, 0, v9
	v_cndmask_b32_e32 v10, v6, v10, vcc_lo
	v_cndmask_b32_e32 v9, v2, v11, vcc_lo
.LBB0_4:                                ;   in Loop: Header=BB0_2 Depth=1
	s_andn2_saveexec_b32 s0, s1
	s_cbranch_execz .LBB0_6
; %bb.5:                                ;   in Loop: Header=BB0_2 Depth=1
	v_cvt_f32_u32_e32 v2, s20
	s_sub_i32 s1, 0, s20
	v_rcp_iflag_f32_e32 v2, v2
	v_mul_f32_e32 v2, 0x4f7ffffe, v2
	v_cvt_u32_f32_e32 v2, v2
	v_mul_lo_u32 v6, s1, v2
	v_mul_hi_u32 v6, v2, v6
	v_add_nc_u32_e32 v2, v2, v6
	v_mul_hi_u32 v2, v7, v2
	v_mul_lo_u32 v6, v2, s20
	v_add_nc_u32_e32 v9, 1, v2
	v_sub_nc_u32_e32 v6, v7, v6
	v_subrev_nc_u32_e32 v10, s20, v6
	v_cmp_le_u32_e32 vcc_lo, s20, v6
	v_cndmask_b32_e32 v6, v6, v10, vcc_lo
	v_cndmask_b32_e32 v2, v2, v9, vcc_lo
	v_mov_b32_e32 v10, v5
	v_cmp_le_u32_e32 vcc_lo, s20, v6
	v_add_nc_u32_e32 v9, 1, v2
	v_cndmask_b32_e32 v9, v2, v9, vcc_lo
.LBB0_6:                                ;   in Loop: Header=BB0_2 Depth=1
	s_or_b32 exec_lo, exec_lo, s0
	s_load_dwordx2 s[0:1], s[6:7], 0x0
	v_mul_lo_u32 v2, v10, s20
	v_mul_lo_u32 v6, v9, s21
	v_mad_u64_u32 v[11:12], null, v9, s20, 0
	s_add_u32 s18, s18, 1
	s_addc_u32 s19, s19, 0
	s_add_u32 s6, s6, 8
	s_addc_u32 s7, s7, 0
	s_add_u32 s16, s16, 8
	s_addc_u32 s17, s17, 0
	v_add3_u32 v2, v12, v6, v2
	v_sub_co_u32 v6, vcc_lo, v7, v11
	v_sub_co_ci_u32_e32 v2, vcc_lo, v8, v2, vcc_lo
	s_waitcnt lgkmcnt(0)
	v_mul_lo_u32 v7, s1, v6
	v_mul_lo_u32 v2, s0, v2
	v_mad_u64_u32 v[3:4], null, s0, v6, v[3:4]
	v_cmp_ge_u64_e64 s0, s[18:19], s[10:11]
	s_and_b32 vcc_lo, exec_lo, s0
	v_add3_u32 v4, v7, v4, v2
	s_cbranch_vccnz .LBB0_8
; %bb.7:                                ;   in Loop: Header=BB0_2 Depth=1
	v_mov_b32_e32 v7, v9
	v_mov_b32_e32 v8, v10
	s_branch .LBB0_2
.LBB0_8:
	s_lshl_b64 s[0:1], s[10:11], 3
	v_mul_hi_u32 v2, 0x3e0f83f, v0
	s_add_u32 s0, s14, s0
	s_addc_u32 s1, s15, s1
                                        ; implicit-def: $vgpr171
                                        ; implicit-def: $vgpr167
	s_load_dwordx2 s[0:1], s[0:1], 0x0
	s_load_dwordx2 s[4:5], s[4:5], 0x20
	v_mul_u32_u24_e32 v5, 0x42, v2
	v_sub_nc_u32_e32 v150, v0, v5
	v_add_nc_u32_e32 v158, 0x42, v150
	v_add_nc_u32_e32 v159, 0x84, v150
	s_waitcnt lgkmcnt(0)
	v_mul_lo_u32 v6, s0, v10
	v_mul_lo_u32 v7, s1, v9
	v_mad_u64_u32 v[2:3], null, s0, v9, v[3:4]
	v_cmp_gt_u64_e32 vcc_lo, s[4:5], v[9:10]
	v_cmp_le_u64_e64 s0, s[4:5], v[9:10]
	v_add3_u32 v3, v7, v3, v6
	s_and_saveexec_b32 s1, s0
	s_xor_b32 s0, exec_lo, s1
; %bb.9:
	v_add_nc_u32_e32 v171, 0x42, v150
	v_add_nc_u32_e32 v167, 0x84, v150
; %bb.10:
	s_or_saveexec_b32 s1, s0
	v_lshlrev_b64 v[152:153], 4, v[2:3]
	v_add_nc_u32_e32 v160, 0xc6, v150
	v_add_nc_u32_e32 v163, 0x18c, v150
	;; [unrolled: 1-line block ×8, first 2 shown]
                                        ; implicit-def: $vgpr50_vgpr51
                                        ; implicit-def: $vgpr54_vgpr55
                                        ; implicit-def: $vgpr106_vgpr107
                                        ; implicit-def: $vgpr82_vgpr83
                                        ; implicit-def: $vgpr102_vgpr103
                                        ; implicit-def: $vgpr78_vgpr79
                                        ; implicit-def: $vgpr58_vgpr59
                                        ; implicit-def: $vgpr62_vgpr63
                                        ; implicit-def: $vgpr114_vgpr115
                                        ; implicit-def: $vgpr98_vgpr99
                                        ; implicit-def: $vgpr110_vgpr111
                                        ; implicit-def: $vgpr90_vgpr91
                                        ; implicit-def: $vgpr70_vgpr71
                                        ; implicit-def: $vgpr74_vgpr75
                                        ; implicit-def: $vgpr86_vgpr87
                                        ; implicit-def: $vgpr94_vgpr95
                                        ; implicit-def: $vgpr66_vgpr67
                                        ; implicit-def: $vgpr46_vgpr47
	s_xor_b32 exec_lo, exec_lo, s1
	s_cbranch_execz .LBB0_12
; %bb.11:
	v_mad_u64_u32 v[2:3], null, s2, v150, 0
	v_mad_u64_u32 v[4:5], null, s2, v160, 0
	;; [unrolled: 1-line block ×3, first 2 shown]
	v_add_nc_u32_e32 v12, 0x252, v150
	v_add_nc_u32_e32 v17, 0x3de, v150
	v_mov_b32_e32 v0, v3
	v_add_nc_u32_e32 v26, 0x294, v150
	v_mov_b32_e32 v3, v5
	v_add_co_u32 v42, s0, s12, v152
	v_mad_u64_u32 v[8:9], null, s3, v150, v[0:1]
	v_mad_u64_u32 v[9:10], null, s3, v160, v[3:4]
	v_mov_b32_e32 v0, v7
	v_mad_u64_u32 v[10:11], null, s2, v12, 0
	v_add_co_ci_u32_e64 v43, s0, s13, v153, s0
	v_mov_b32_e32 v3, v8
	v_mad_u64_u32 v[7:8], null, s3, v163, v[0:1]
	v_mov_b32_e32 v5, v9
	v_mad_u64_u32 v[8:9], null, s2, v164, 0
	v_mov_b32_e32 v0, v11
	v_lshlrev_b64 v[2:3], 4, v[2:3]
	v_lshlrev_b64 v[4:5], 4, v[4:5]
	;; [unrolled: 1-line block ×3, first 2 shown]
	v_add_nc_u32_e32 v28, 0x420, v150
	v_mad_u64_u32 v[11:12], null, s3, v12, v[0:1]
	v_mov_b32_e32 v0, v9
	v_mad_u64_u32 v[12:13], null, s2, v17, 0
	v_add_co_u32 v2, s0, v42, v2
	v_mad_u64_u32 v[14:15], null, s3, v164, v[0:1]
	v_mad_u64_u32 v[15:16], null, s2, v158, 0
	v_mov_b32_e32 v0, v13
	v_add_co_ci_u32_e64 v3, s0, v43, v3, s0
	v_add_co_u32 v4, s0, v42, v4
	v_mov_b32_e32 v9, v14
	v_mad_u64_u32 v[13:14], null, s3, v17, v[0:1]
	v_mov_b32_e32 v0, v16
	v_mad_u64_u32 v[17:18], null, s2, v161, 0
	v_lshlrev_b64 v[10:11], 4, v[10:11]
	v_add_co_ci_u32_e64 v5, s0, v43, v5, s0
	v_mad_u64_u32 v[19:20], null, s3, v158, v[0:1]
	v_add_co_u32 v6, s0, v42, v6
	v_mov_b32_e32 v0, v18
	v_lshlrev_b64 v[8:9], 4, v[8:9]
	v_add_co_ci_u32_e64 v7, s0, v43, v7, s0
	v_mov_b32_e32 v16, v19
	v_mad_u64_u32 v[19:20], null, s2, v165, 0
	v_mad_u64_u32 v[21:22], null, s3, v161, v[0:1]
	;; [unrolled: 1-line block ×3, first 2 shown]
	v_add_co_u32 v10, s0, v42, v10
	v_mov_b32_e32 v0, v20
	v_lshlrev_b64 v[12:13], 4, v[12:13]
	v_mov_b32_e32 v18, v21
	v_add_co_ci_u32_e64 v11, s0, v43, v11, s0
	v_mad_u64_u32 v[24:25], null, s3, v165, v[0:1]
	v_mov_b32_e32 v0, v23
	v_add_co_u32 v8, s0, v42, v8
	v_lshlrev_b64 v[14:15], 4, v[15:16]
	v_lshlrev_b64 v[16:17], 4, v[17:18]
	v_mad_u64_u32 v[26:27], null, s3, v26, v[0:1]
	v_mov_b32_e32 v20, v24
	v_mad_u64_u32 v[24:25], null, s2, v166, 0
	v_add_co_ci_u32_e64 v9, s0, v43, v9, s0
	v_lshlrev_b64 v[18:19], 4, v[19:20]
	v_mad_u64_u32 v[20:21], null, s2, v28, 0
	v_add_co_u32 v12, s0, v42, v12
	v_mov_b32_e32 v0, v25
	v_mov_b32_e32 v23, v26
	v_add_co_ci_u32_e64 v13, s0, v43, v13, s0
	v_add_co_u32 v14, s0, v42, v14
	v_add_co_ci_u32_e64 v15, s0, v43, v15, s0
	v_add_co_u32 v16, s0, v42, v16
	v_mad_u64_u32 v[25:26], null, s3, v166, v[0:1]
	v_mov_b32_e32 v0, v21
	v_lshlrev_b64 v[21:22], 4, v[22:23]
	v_add_co_ci_u32_e64 v17, s0, v43, v17, s0
	v_add_co_u32 v18, s0, v42, v18
	v_mad_u64_u32 v[26:27], null, s2, v159, 0
	v_add_co_ci_u32_e64 v19, s0, v43, v19, s0
	v_mad_u64_u32 v[28:29], null, s3, v28, v[0:1]
	v_add_co_u32 v29, s0, v42, v21
	v_add_co_ci_u32_e64 v30, s0, v43, v22, s0
	v_lshlrev_b64 v[22:23], 4, v[24:25]
	v_mad_u64_u32 v[24:25], null, s2, v162, 0
	v_mov_b32_e32 v0, v27
	v_mov_b32_e32 v21, v28
	v_mad_u64_u32 v[31:32], null, s2, v170, 0
	v_add_nc_u32_e32 v41, 0x39c, v150
	v_mad_u64_u32 v[27:28], null, s3, v159, v[0:1]
	v_mov_b32_e32 v0, v25
	v_add_nc_u32_e32 v28, 0x2d6, v150
	v_mad_u64_u32 v[35:36], null, s2, v41, 0
	v_add_nc_u32_e32 v44, 0x462, v150
	v_mad_u64_u32 v[33:34], null, s3, v162, v[0:1]
	v_mov_b32_e32 v0, v32
	v_lshlrev_b64 v[20:21], 4, v[20:21]
	v_mad_u64_u32 v[37:38], null, s2, v44, 0
	v_add_co_u32 v22, s0, v42, v22
	v_mov_b32_e32 v25, v33
	v_mad_u64_u32 v[32:33], null, s3, v170, v[0:1]
	v_mad_u64_u32 v[33:34], null, s2, v28, 0
	v_lshlrev_b64 v[26:27], 4, v[26:27]
	v_add_co_ci_u32_e64 v23, s0, v43, v23, s0
	v_add_co_u32 v20, s0, v42, v20
	v_lshlrev_b64 v[24:25], 4, v[24:25]
	v_mov_b32_e32 v0, v34
	v_add_co_ci_u32_e64 v21, s0, v43, v21, s0
	v_add_co_u32 v26, s0, v42, v26
	v_mad_u64_u32 v[39:40], null, s3, v28, v[0:1]
	v_mov_b32_e32 v0, v36
	v_mov_b32_e32 v28, v38
	v_lshlrev_b64 v[31:32], 4, v[31:32]
	v_add_co_ci_u32_e64 v27, s0, v43, v27, s0
	v_mad_u64_u32 v[40:41], null, s3, v41, v[0:1]
	v_mov_b32_e32 v34, v39
	v_add_co_u32 v24, s0, v42, v24
	v_mad_u64_u32 v[38:39], null, s3, v44, v[28:29]
	v_add_co_ci_u32_e64 v25, s0, v43, v25, s0
	v_mov_b32_e32 v36, v40
	s_clause 0x1
	global_load_dwordx4 v[44:47], v[2:3], off
	global_load_dwordx4 v[64:67], v[4:5], off
	v_lshlrev_b64 v[2:3], 4, v[33:34]
	v_add_co_u32 v4, s0, v42, v31
	v_add_co_ci_u32_e64 v5, s0, v43, v32, s0
	v_lshlrev_b64 v[31:32], 4, v[35:36]
	v_add_co_u32 v2, s0, v42, v2
	v_lshlrev_b64 v[33:34], 4, v[37:38]
	v_add_co_ci_u32_e64 v3, s0, v43, v3, s0
	v_add_co_u32 v31, s0, v42, v31
	v_add_co_ci_u32_e64 v32, s0, v43, v32, s0
	v_add_co_u32 v33, s0, v42, v33
	v_add_co_ci_u32_e64 v34, s0, v43, v34, s0
	s_clause 0xf
	global_load_dwordx4 v[92:95], v[6:7], off
	global_load_dwordx4 v[84:87], v[10:11], off
	;; [unrolled: 1-line block ×16, first 2 shown]
	v_mov_b32_e32 v167, v159
	v_mov_b32_e32 v171, v158
.LBB0_12:
	s_or_b32 exec_lo, exec_lo, s1
	s_waitcnt vmcnt(12)
	v_add_f64 v[2:3], v[70:71], v[86:87]
	s_waitcnt vmcnt(6)
	v_add_f64 v[4:5], v[58:59], v[114:115]
	;; [unrolled: 2-line block ×3, first 2 shown]
	v_add_f64 v[8:9], v[68:69], v[84:85]
	v_add_f64 v[10:11], v[84:85], -v[68:69]
	v_add_f64 v[12:13], v[56:57], v[112:113]
	v_add_f64 v[14:15], v[112:113], -v[56:57]
	;; [unrolled: 2-line block ×3, first 2 shown]
	s_mov_b32 s4, 0xe8584caa
	s_mov_b32 s5, 0xbfebb67a
	;; [unrolled: 1-line block ×4, first 2 shown]
	v_add_f64 v[16:17], v[72:73], v[92:93]
	v_add_f64 v[24:25], v[86:87], -v[70:71]
	v_add_f64 v[28:29], v[84:85], v[64:65]
	v_add_f64 v[34:35], v[52:53], v[80:81]
	;; [unrolled: 1-line block ×3, first 2 shown]
	v_add_f64 v[32:33], v[114:115], -v[58:59]
	v_add_f64 v[36:37], v[106:107], -v[50:51]
	;; [unrolled: 1-line block ×3, first 2 shown]
	v_add_f64 v[26:27], v[92:93], v[44:45]
	v_fma_f64 v[2:3], v[2:3], -0.5, v[66:67]
	v_fma_f64 v[4:5], v[4:5], -0.5, v[110:111]
	;; [unrolled: 1-line block ×4, first 2 shown]
	v_mul_hi_u32 v0, 0xaaaaaaab, v1
	v_lshlrev_b32_e32 v127, 3, v150
	v_cmp_gt_u32_e64 s0, 42, v150
	v_lshlrev_b32_e32 v173, 3, v171
	v_lshrrev_b32_e32 v0, 1, v0
	v_fma_f64 v[16:17], v[16:17], -0.5, v[44:45]
	v_fma_f64 v[34:35], v[34:35], -0.5, v[76:77]
	;; [unrolled: 1-line block ×3, first 2 shown]
	v_lshl_add_u32 v0, v0, 1, v0
	v_fma_f64 v[64:65], v[10:11], s[6:7], v[2:3]
	v_fma_f64 v[84:85], v[10:11], s[4:5], v[2:3]
	v_fma_f64 v[2:3], v[12:13], -0.5, v[108:109]
	v_fma_f64 v[116:117], v[14:15], s[6:7], v[4:5]
	v_fma_f64 v[122:123], v[14:15], s[4:5], v[4:5]
	v_fma_f64 v[4:5], v[18:19], -0.5, v[100:101]
	v_fma_f64 v[118:119], v[20:21], s[6:7], v[6:7]
	v_fma_f64 v[120:121], v[20:21], s[4:5], v[6:7]
	v_add_f64 v[6:7], v[96:97], v[88:89]
	v_add_f64 v[12:13], v[112:113], v[108:109]
	;; [unrolled: 1-line block ×3, first 2 shown]
	v_fma_f64 v[112:113], v[24:25], s[4:5], v[8:9]
	v_fma_f64 v[76:77], v[24:25], s[6:7], v[8:9]
	v_add_f64 v[10:11], v[98:99], -v[62:63]
	v_add_f64 v[14:15], v[82:83], -v[54:55]
	v_add_f64 v[20:21], v[104:105], v[100:101]
	v_sub_nc_u32_e32 v126, v1, v0
	v_add_f64 v[0:1], v[72:73], v[26:27]
	v_add_f64 v[26:27], v[68:69], v[28:29]
	v_fma_f64 v[28:29], v[22:23], s[4:5], v[16:17]
	v_fma_f64 v[38:39], v[22:23], s[6:7], v[16:17]
	v_mul_f64 v[8:9], v[64:65], s[4:5]
	v_mul_f64 v[24:25], v[84:85], s[4:5]
	v_fma_f64 v[108:109], v[32:33], s[4:5], v[2:3]
	v_fma_f64 v[88:89], v[32:33], s[6:7], v[2:3]
	v_mul_f64 v[2:3], v[116:117], s[4:5]
	v_mul_f64 v[32:33], v[122:123], s[4:5]
	v_fma_f64 v[104:105], v[36:37], s[4:5], v[4:5]
	v_fma_f64 v[100:101], v[36:37], s[6:7], v[4:5]
	v_mul_f64 v[4:5], v[118:119], s[4:5]
	v_mul_f64 v[36:37], v[120:121], s[4:5]
	v_add_f64 v[6:7], v[60:61], v[6:7]
	v_add_f64 v[12:13], v[56:57], v[12:13]
	;; [unrolled: 1-line block ×3, first 2 shown]
	v_fma_f64 v[40:41], v[10:11], s[4:5], v[30:31]
	v_fma_f64 v[42:43], v[10:11], s[6:7], v[30:31]
	v_add_f64 v[20:21], v[48:49], v[20:21]
	v_fma_f64 v[48:49], v[14:15], s[4:5], v[34:35]
	v_fma_f64 v[56:57], v[14:15], s[6:7], v[34:35]
	v_add_f64 v[10:11], v[26:27], v[0:1]
	v_add_f64 v[16:17], v[0:1], -v[26:27]
	v_mul_i32_i24_e32 v1, 6, v171
	v_fma_f64 v[8:9], v[112:113], 0.5, v[8:9]
	v_fma_f64 v[24:25], v[76:77], -0.5, v[24:25]
	v_fma_f64 v[2:3], v[108:109], 0.5, v[2:3]
	v_fma_f64 v[44:45], v[88:89], -0.5, v[32:33]
	;; [unrolled: 2-line block ×3, first 2 shown]
	v_mul_u32_u24_e32 v4, 0x4a4, v126
	v_add_f64 v[26:27], v[12:13], v[6:7]
	v_add_f64 v[32:33], v[6:7], -v[12:13]
	v_mul_u32_u24_e32 v126, 6, v150
	v_lshlrev_b32_e32 v172, 3, v4
	v_add_f64 v[22:23], v[20:21], v[18:19]
	v_add_f64 v[20:21], v[18:19], -v[20:21]
	v_add_nc_u32_e32 v0, 0, v172
	v_add3_u32 v168, 0, v127, v172
	v_add_f64 v[12:13], v[28:29], v[8:9]
	v_add_f64 v[14:15], v[38:39], v[24:25]
	v_add_f64 v[34:35], v[28:29], -v[8:9]
	v_add_f64 v[36:37], v[38:39], -v[24:25]
	v_add_f64 v[28:29], v[40:41], v[2:3]
	v_add_f64 v[30:31], v[42:43], v[44:45]
	v_add_f64 v[2:3], v[40:41], -v[2:3]
	v_add_f64 v[4:5], v[42:43], -v[44:45]
	;; [unrolled: 4-line block ×3, first 2 shown]
	v_mul_i32_i24_e32 v38, 6, v167
	v_lshl_add_u32 v126, v126, 3, v0
	v_add_nc_u32_e32 v169, v0, v127
	v_add_nc_u32_e32 v57, 0x800, v168
	v_lshl_add_u32 v69, v1, 3, v0
	v_add_nc_u32_e32 v68, 0x1000, v168
	v_add_nc_u32_e32 v124, 0x1400, v168
	v_lshl_add_u32 v56, v38, 3, v0
	v_add_nc_u32_e32 v125, 0x1c00, v168
	ds_write_b128 v126, v[10:13]
	ds_write_b128 v126, v[14:17] offset:16
	ds_write_b128 v126, v[34:37] offset:32
	ds_write_b128 v69, v[26:29]
	ds_write_b128 v69, v[30:33] offset:16
	ds_write_b128 v69, v[2:5] offset:32
	;; [unrolled: 3-line block ×3, first 2 shown]
	s_waitcnt lgkmcnt(0)
	s_barrier
	buffer_gl0_inv
	ds_read_b64 v[154:155], v169
	ds_read2_b64 v[42:45], v168 offset0:108 offset1:216
	ds_read2_b64 v[30:33], v57 offset0:68 offset1:176
	;; [unrolled: 1-line block ×5, first 2 shown]
                                        ; implicit-def: $vgpr12_vgpr13
                                        ; implicit-def: $vgpr16_vgpr17
	s_and_saveexec_b32 s1, s0
	s_cbranch_execz .LBB0_14
; %bb.13:
	v_add3_u32 v0, 0, v173, v172
	v_add_nc_u32_e32 v1, 0x400, v168
	v_add_nc_u32_e32 v2, 0x1800, v168
	;; [unrolled: 1-line block ×3, first 2 shown]
	ds_read_b64 v[4:5], v0
	ds_read2_b64 v[22:25], v1 offset0:46 offset1:154
	ds_read2_b64 v[18:21], v57 offset0:134 offset1:242
	ds_read2_b64 v[6:9], v68 offset0:94 offset1:202
	ds_read2_b64 v[14:17], v2 offset0:54 offset1:162
	ds_read2_b64 v[10:13], v3 offset0:14 offset1:122
.LBB0_14:
	s_or_b32 exec_lo, exec_lo, s1
	v_add_f64 v[0:1], v[74:75], v[94:95]
	v_add_f64 v[2:3], v[62:63], v[98:99]
	v_add_f64 v[48:49], v[54:55], v[82:83]
	v_add_f64 v[94:95], v[94:95], v[46:47]
	v_add_f64 v[72:73], v[92:93], -v[72:73]
	v_add_f64 v[66:67], v[86:87], v[66:67]
	v_mul_f64 v[86:87], v[112:113], s[6:7]
	v_add_f64 v[92:93], v[98:99], v[90:91]
	v_add_f64 v[98:99], v[114:115], v[110:111]
	v_mul_f64 v[84:85], v[84:85], -0.5
	v_add_f64 v[82:83], v[82:83], v[78:79]
	v_add_f64 v[102:103], v[106:107], v[102:103]
	v_add_f64 v[52:53], v[80:81], -v[52:53]
	v_mul_f64 v[80:81], v[104:105], s[6:7]
	s_waitcnt lgkmcnt(0)
	s_barrier
	buffer_gl0_inv
	v_fma_f64 v[0:1], v[0:1], -0.5, v[46:47]
	v_add_f64 v[46:47], v[96:97], -v[60:61]
	v_mul_f64 v[60:61], v[108:109], s[6:7]
	v_fma_f64 v[2:3], v[2:3], -0.5, v[90:91]
	v_mul_f64 v[96:97], v[122:123], -0.5
	v_fma_f64 v[48:49], v[48:49], -0.5, v[78:79]
	v_mul_f64 v[90:91], v[120:121], -0.5
	v_add_f64 v[74:75], v[74:75], v[94:95]
	v_add_f64 v[66:67], v[70:71], v[66:67]
	v_fma_f64 v[64:65], v[64:65], 0.5, v[86:87]
	v_add_f64 v[62:63], v[62:63], v[92:93]
	v_add_f64 v[70:71], v[58:59], v[98:99]
	v_fma_f64 v[76:77], v[76:77], s[6:7], v[84:85]
	v_add_f64 v[54:55], v[54:55], v[82:83]
	v_add_f64 v[50:51], v[50:51], v[102:103]
	v_fma_f64 v[78:79], v[72:73], s[6:7], v[0:1]
	v_fma_f64 v[0:1], v[72:73], s[4:5], v[0:1]
	v_fma_f64 v[86:87], v[116:117], 0.5, v[60:61]
	v_fma_f64 v[92:93], v[46:47], s[6:7], v[2:3]
	v_fma_f64 v[88:89], v[88:89], s[6:7], v[96:97]
	;; [unrolled: 1-line block ×3, first 2 shown]
	v_fma_f64 v[46:47], v[118:119], 0.5, v[80:81]
	v_fma_f64 v[94:95], v[52:53], s[6:7], v[48:49]
	v_fma_f64 v[90:91], v[100:101], s[6:7], v[90:91]
	;; [unrolled: 1-line block ×3, first 2 shown]
	v_add_f64 v[58:59], v[66:67], v[74:75]
	v_add_f64 v[72:73], v[74:75], -v[66:67]
	v_add_f64 v[74:75], v[70:71], v[62:63]
	v_add_f64 v[80:81], v[62:63], -v[70:71]
	;; [unrolled: 2-line block ×3, first 2 shown]
	v_add_f64 v[60:61], v[78:79], v[64:65]
	v_add_f64 v[70:71], v[0:1], v[76:77]
	v_add_f64 v[82:83], v[78:79], -v[64:65]
	v_add_f64 v[84:85], v[0:1], -v[76:77]
	v_add_f64 v[76:77], v[92:93], v[86:87]
	v_add_f64 v[78:79], v[2:3], v[88:89]
	v_add_f64 v[0:1], v[92:93], -v[86:87]
	v_add_f64 v[2:3], v[2:3], -v[88:89]
	;; [unrolled: 4-line block ×3, first 2 shown]
	ds_write_b128 v126, v[58:61]
	ds_write_b128 v126, v[70:73] offset:16
	ds_write_b128 v126, v[82:85] offset:32
	ds_write_b128 v69, v[74:77]
	ds_write_b128 v69, v[78:81] offset:16
	ds_write_b128 v69, v[0:3] offset:32
	;; [unrolled: 3-line block ×3, first 2 shown]
	s_waitcnt lgkmcnt(0)
	s_barrier
	buffer_gl0_inv
	ds_read_b64 v[0:1], v169
	ds_read2_b64 v[78:81], v168 offset0:108 offset1:216
	ds_read2_b64 v[70:73], v57 offset0:68 offset1:176
	;; [unrolled: 1-line block ×5, first 2 shown]
                                        ; implicit-def: $vgpr56_vgpr57
                                        ; implicit-def: $vgpr60_vgpr61
	s_and_saveexec_b32 s1, s0
	s_cbranch_execz .LBB0_16
; %bb.15:
	v_add3_u32 v2, 0, v173, v172
	v_add_nc_u32_e32 v46, 0x400, v168
	v_add_nc_u32_e32 v47, 0x800, v168
	;; [unrolled: 1-line block ×5, first 2 shown]
	ds_read_b64 v[2:3], v2
	ds_read2_b64 v[62:65], v46 offset0:46 offset1:154
	ds_read2_b64 v[50:53], v47 offset0:134 offset1:242
	;; [unrolled: 1-line block ×5, first 2 shown]
.LBB0_16:
	s_or_b32 exec_lo, exec_lo, s1
	v_and_b32_e32 v86, 0xff, v150
	v_mov_b32_e32 v87, 10
	v_and_b32_e32 v88, 0xff, v171
	s_mov_b32 s10, 0xf8bb580b
	s_mov_b32 s4, 0x8eee2c13
	v_mul_lo_u16 v86, 0xab, v86
	s_mov_b32 s6, 0x43842ef
	v_mul_lo_u16 v88, 0xab, v88
	s_mov_b32 s11, 0xbfe14ced
	s_mov_b32 s5, 0xbfed1bb4
	v_lshrrev_b16 v156, 10, v86
	s_mov_b32 s7, 0xbfefac9e
	v_lshrrev_b16 v175, 10, v88
	s_mov_b32 s14, 0xbb3a28a1
	s_mov_b32 s20, 0xfd768dbf
	v_mul_lo_u16 v86, v156, 6
	v_and_b32_e32 v236, 0xffff, v156
	v_mul_lo_u16 v88, v175, 6
	s_mov_b32 s15, 0xbfe82f19
	s_mov_b32 s21, 0xbfd207e7
	v_sub_nc_u16 v174, v150, v86
	s_mov_b32 s34, 0x8764f0ba
	v_sub_nc_u16 v151, v171, v88
	s_mov_b32 s28, 0xd9c712b6
	s_mov_b32 s26, 0x640f44db
	v_mul_u32_u24_sdwa v86, v174, v87 dst_sel:DWORD dst_unused:UNUSED_PAD src0_sel:BYTE_0 src1_sel:DWORD
	s_mov_b32 s35, 0x3feaeb8c
	v_mul_u32_u24_sdwa v87, v151, v87 dst_sel:DWORD dst_unused:UNUSED_PAD src0_sel:BYTE_0 src1_sel:DWORD
	s_mov_b32 s29, 0x3fda9628
	s_mov_b32 s27, 0xbfc2375f
	v_lshlrev_b32_e32 v86, 4, v86
	s_mov_b32 s30, 0x7f775887
	v_lshlrev_b32_e32 v157, 4, v87
	s_mov_b32 s36, 0x9bcd5057
	s_mov_b32 s25, 0x3fd207e7
	s_clause 0x13
	global_load_dwordx4 v[94:97], v86, s[8:9]
	global_load_dwordx4 v[110:113], v86, s[8:9] offset:16
	global_load_dwordx4 v[90:93], v86, s[8:9] offset:144
	;; [unrolled: 1-line block ×9, first 2 shown]
	global_load_dwordx4 v[138:141], v157, s[8:9]
	global_load_dwordx4 v[134:137], v157, s[8:9] offset:16
	global_load_dwordx4 v[130:133], v157, s[8:9] offset:32
	;; [unrolled: 1-line block ×9, first 2 shown]
	s_mov_b32 s17, 0x3fefac9e
	s_mov_b32 s23, 0x3fe14ced
	;; [unrolled: 1-line block ×9, first 2 shown]
	s_waitcnt vmcnt(0) lgkmcnt(0)
	s_barrier
	buffer_gl0_inv
	v_mul_f64 v[214:215], v[68:69], v[124:125]
	v_mul_f64 v[216:217], v[62:63], v[140:141]
	;; [unrolled: 1-line block ×23, first 2 shown]
	v_fma_f64 v[28:29], v[28:29], v[122:123], v[214:215]
	v_mul_f64 v[224:225], v[46:47], v[144:145]
	v_mul_f64 v[144:145], v[6:7], v[144:145]
	;; [unrolled: 1-line block ×4, first 2 shown]
	v_fma_f64 v[156:157], v[42:43], v[94:95], v[192:193]
	v_mul_f64 v[42:43], v[42:43], v[96:97]
	v_mul_f64 v[96:97], v[40:41], v[92:93]
	;; [unrolled: 1-line block ×3, first 2 shown]
	v_fma_f64 v[100:101], v[44:45], v[110:111], v[194:195]
	v_mul_f64 v[194:195], v[64:65], v[136:137]
	v_mul_f64 v[136:137], v[24:25], v[136:137]
	v_fma_f64 v[88:89], v[72:73], v[98:99], -v[204:205]
	v_mul_f64 v[228:229], v[60:61], v[182:183]
	v_mul_f64 v[182:183], v[16:17], v[182:183]
	v_fma_f64 v[92:93], v[70:71], v[118:119], -v[120:121]
	v_fma_f64 v[50:51], v[50:51], v[130:131], -v[132:133]
	v_add_f64 v[44:45], v[154:155], v[156:157]
	v_fma_f64 v[112:113], v[78:79], v[94:95], -v[42:43]
	v_fma_f64 v[78:79], v[84:85], v[90:91], -v[96:97]
	v_fma_f64 v[96:97], v[30:31], v[118:119], v[198:199]
	v_fma_f64 v[104:105], v[80:81], v[110:111], -v[192:193]
	v_fma_f64 v[80:81], v[82:83], v[102:103], -v[196:197]
	v_fma_f64 v[110:111], v[40:41], v[90:91], v[108:109]
	v_fma_f64 v[94:95], v[34:35], v[126:127], v[128:129]
	v_fma_f64 v[30:31], v[74:75], v[126:127], -v[208:209]
	v_fma_f64 v[90:91], v[32:33], v[98:99], v[200:201]
	v_fma_f64 v[74:75], v[22:23], v[138:139], v[216:217]
	;; [unrolled: 3-line block ×4, first 2 shown]
	v_fma_f64 v[84:85], v[66:67], v[114:115], -v[116:117]
	v_fma_f64 v[76:77], v[62:63], v[138:139], -v[140:141]
	v_fma_f64 v[62:63], v[24:25], v[134:135], v[194:195]
	v_fma_f64 v[64:65], v[64:65], v[134:135], -v[136:137]
	v_mul_f64 v[36:37], v[54:55], v[186:187]
	v_add_f64 v[44:45], v[44:45], v[100:101]
	v_mul_f64 v[98:99], v[10:11], v[186:187]
	v_add_f64 v[34:35], v[112:113], -v[78:79]
	v_mul_f64 v[106:107], v[56:57], v[190:191]
	v_mul_f64 v[114:115], v[12:13], v[190:191]
	v_add_f64 v[38:39], v[104:105], -v[80:81]
	v_add_f64 v[20:21], v[156:157], v[110:111]
	v_mul_f64 v[42:43], v[58:59], v[178:179]
	v_mul_f64 v[178:179], v[14:15], v[178:179]
	v_add_f64 v[70:71], v[90:91], v[94:95]
	v_add_f64 v[24:25], v[92:93], -v[82:83]
	v_add_f64 v[66:67], v[100:101], v[108:109]
	v_add_f64 v[116:117], v[32:33], v[28:29]
	;; [unrolled: 1-line block ×3, first 2 shown]
	v_add_f64 v[72:73], v[84:85], -v[26:27]
	v_add_f64 v[22:23], v[44:45], v[96:97]
	v_fma_f64 v[44:45], v[18:19], v[130:131], v[218:219]
	v_mul_f64 v[118:119], v[34:35], s[10:11]
	v_mul_f64 v[120:121], v[34:35], s[4:5]
	;; [unrolled: 1-line block ×10, first 2 shown]
	v_add_f64 v[18:19], v[88:89], -v[30:31]
	v_mul_f64 v[134:135], v[24:25], s[6:7]
	v_mul_f64 v[136:137], v[24:25], s[24:25]
	;; [unrolled: 1-line block ×7, first 2 shown]
	v_add_f64 v[22:23], v[22:23], v[90:91]
	v_fma_f64 v[200:201], v[20:21], s[34:35], v[118:119]
	v_fma_f64 v[202:203], v[20:21], s[28:29], v[120:121]
	v_fma_f64 v[120:121], v[20:21], s[28:29], -v[120:121]
	v_fma_f64 v[204:205], v[20:21], s[26:27], v[122:123]
	v_fma_f64 v[206:207], v[20:21], s[30:31], v[124:125]
	v_fma_f64 v[124:125], v[20:21], s[30:31], -v[124:125]
	v_fma_f64 v[208:209], v[20:21], s[36:37], v[34:35]
	v_fma_f64 v[34:35], v[20:21], s[36:37], -v[34:35]
	v_fma_f64 v[122:123], v[20:21], s[26:27], -v[122:123]
	;; [unrolled: 1-line block ×3, first 2 shown]
	v_fma_f64 v[210:211], v[66:67], s[28:29], v[126:127]
	v_fma_f64 v[126:127], v[66:67], s[28:29], -v[126:127]
	v_fma_f64 v[212:213], v[66:67], s[30:31], v[128:129]
	v_fma_f64 v[128:129], v[66:67], s[30:31], -v[128:129]
	;; [unrolled: 2-line block ×5, first 2 shown]
	v_add_f64 v[22:23], v[22:23], v[32:33]
	v_mul_f64 v[186:187], v[18:19], s[14:15]
	v_add_f64 v[66:67], v[154:155], v[200:201]
	v_add_f64 v[200:201], v[154:155], v[202:203]
	;; [unrolled: 1-line block ×10, first 2 shown]
	v_mul_f64 v[190:191], v[18:19], s[16:17]
	v_mul_f64 v[192:193], v[18:19], s[10:11]
	v_fma_f64 v[208:209], v[68:69], s[26:27], v[134:135]
	v_fma_f64 v[134:135], v[68:69], s[26:27], -v[134:135]
	v_fma_f64 v[220:221], v[68:69], s[36:37], v[136:137]
	v_fma_f64 v[136:137], v[68:69], s[36:37], -v[136:137]
	;; [unrolled: 2-line block ×4, first 2 shown]
	v_add_f64 v[22:23], v[22:23], v[28:29]
	v_fma_f64 v[234:235], v[68:69], s[30:31], v[24:25]
	v_fma_f64 v[24:25], v[68:69], s[30:31], -v[24:25]
	v_add_f64 v[68:69], v[212:213], v[200:201]
	v_add_f64 v[120:121], v[128:129], v[120:121]
	;; [unrolled: 1-line block ×3, first 2 shown]
	v_mul_f64 v[194:195], v[18:19], s[20:21]
	v_mul_f64 v[18:19], v[18:19], s[18:19]
	v_add_f64 v[200:201], v[216:217], v[204:205]
	v_add_f64 v[124:125], v[132:133], v[124:125]
	;; [unrolled: 1-line block ×7, first 2 shown]
	v_mul_f64 v[118:119], v[72:73], s[14:15]
	v_fma_f64 v[122:123], v[70:71], s[30:31], v[186:187]
	v_fma_f64 v[126:127], v[70:71], s[30:31], -v[186:187]
	v_fma_f64 v[130:131], v[70:71], s[26:27], v[190:191]
	v_fma_f64 v[186:187], v[70:71], s[26:27], -v[190:191]
	v_fma_f64 v[190:191], v[70:71], s[34:35], v[192:193]
	v_mul_f64 v[154:155], v[72:73], s[18:19]
	v_add_f64 v[22:23], v[22:23], v[94:95]
	v_mul_f64 v[72:73], v[72:73], s[6:7]
	v_fma_f64 v[192:193], v[70:71], s[34:35], -v[192:193]
	v_add_f64 v[68:69], v[220:221], v[68:69]
	v_add_f64 v[120:121], v[136:137], v[120:121]
	;; [unrolled: 1-line block ×3, first 2 shown]
	v_fma_f64 v[202:203], v[70:71], s[36:37], v[194:195]
	v_fma_f64 v[204:205], v[70:71], s[28:29], v[18:19]
	v_add_f64 v[136:137], v[232:233], v[200:201]
	v_fma_f64 v[194:195], v[70:71], s[36:37], -v[194:195]
	v_add_f64 v[132:133], v[234:235], v[132:133]
	v_fma_f64 v[18:19], v[70:71], s[28:29], -v[18:19]
	v_add_f64 v[124:125], v[140:141], v[124:125]
	v_add_f64 v[24:25], v[24:25], v[34:35]
	;; [unrolled: 1-line block ×5, first 2 shown]
	v_fma_f64 v[134:135], v[116:117], s[36:37], v[196:197]
	v_fma_f64 v[138:139], v[116:117], s[36:37], -v[196:197]
	v_fma_f64 v[140:141], v[116:117], s[34:35], v[198:199]
	v_fma_f64 v[196:197], v[116:117], s[34:35], -v[198:199]
	v_fma_f64 v[198:199], v[116:117], s[30:31], v[118:119]
	v_add_f64 v[22:23], v[22:23], v[102:103]
	v_fma_f64 v[200:201], v[116:117], s[28:29], v[154:155]
	v_fma_f64 v[206:207], v[116:117], s[26:27], v[72:73]
	v_add_f64 v[130:131], v[130:131], v[68:69]
	v_fma_f64 v[118:119], v[116:117], s[30:31], -v[118:119]
	v_add_f64 v[128:129], v[190:191], v[128:129]
	v_fma_f64 v[154:155], v[116:117], s[28:29], -v[154:155]
	v_fma_f64 v[116:117], v[116:117], s[26:27], -v[72:73]
	v_add_f64 v[136:137], v[202:203], v[136:137]
	v_add_f64 v[120:121], v[186:187], v[120:121]
	;; [unrolled: 1-line block ×3, first 2 shown]
	v_fma_f64 v[66:67], v[52:53], v[86:87], -v[222:223]
	v_add_f64 v[124:125], v[194:195], v[124:125]
	v_add_f64 v[18:19], v[18:19], v[24:25]
	;; [unrolled: 1-line block ×5, first 2 shown]
	v_fma_f64 v[68:69], v[6:7], v[142:143], v[224:225]
	v_fma_f64 v[52:53], v[46:47], v[142:143], -v[144:145]
	v_fma_f64 v[70:71], v[8:9], v[146:147], v[226:227]
	v_fma_f64 v[46:47], v[48:49], v[146:147], -v[148:149]
	v_fma_f64 v[72:73], v[14:15], v[176:177], v[42:43]
	v_add_f64 v[22:23], v[22:23], v[108:109]
	v_fma_f64 v[42:43], v[58:59], v[176:177], -v[178:179]
	v_fma_f64 v[58:59], v[16:17], v[180:181], v[228:229]
	v_fma_f64 v[38:39], v[60:61], v[180:181], -v[182:183]
	v_fma_f64 v[60:61], v[10:11], v[184:185], v[36:37]
	;; [unrolled: 2-line block ×3, first 2 shown]
	v_add_f64 v[9:10], v[140:141], v[130:131]
	v_add_f64 v[13:14], v[198:199], v[128:129]
	v_fma_f64 v[36:37], v[56:57], v[188:189], -v[114:115]
	v_add_f64 v[15:16], v[200:201], v[136:137]
	v_add_f64 v[54:55], v[206:207], v[132:133]
	;; [unrolled: 1-line block ×8, first 2 shown]
	v_mov_b32_e32 v6, 3
	v_mad_u32_u24 v21, 0x210, v236, 0
	v_and_b32_e32 v98, 0xffff, v175
	v_add_f64 v[22:23], v[22:23], v[110:111]
	v_lshlrev_b32_sdwa v56, v6, v174 dst_sel:DWORD dst_unused:UNUSED_PAD src0_sel:DWORD src1_sel:BYTE_0
	v_add3_u32 v99, v21, v56, v172
	ds_write2_b64 v99, v[9:10], v[13:14] offset0:12 offset1:18
	ds_write2_b64 v99, v[15:16], v[54:55] offset0:24 offset1:30
	;; [unrolled: 1-line block ×4, first 2 shown]
	ds_write2_b64 v99, v[22:23], v[7:8] offset1:6
	ds_write_b64 v99, v[19:20] offset:480
	s_and_saveexec_b32 s1, s0
	s_cbranch_execz .LBB0_18
; %bb.17:
	v_add_f64 v[7:8], v[4:5], v[74:75]
	v_add_f64 v[11:12], v[76:77], -v[36:37]
	v_add_f64 v[17:18], v[64:65], -v[34:35]
	v_add_f64 v[54:55], v[74:75], v[86:87]
	v_add_f64 v[15:16], v[50:51], -v[38:39]
	v_add_f64 v[48:49], v[62:63], v[60:61]
	;; [unrolled: 2-line block ×4, first 2 shown]
	v_add_f64 v[19:20], v[68:69], v[70:71]
	v_lshlrev_b32_sdwa v6, v6, v151 dst_sel:DWORD dst_unused:UNUSED_PAD src0_sel:DWORD src1_sel:BYTE_0
	v_add_f64 v[7:8], v[7:8], v[62:63]
	v_mul_f64 v[106:107], v[11:12], s[20:21]
	v_mul_f64 v[116:117], v[11:12], s[14:15]
	;; [unrolled: 1-line block ×21, first 2 shown]
	v_add_f64 v[7:8], v[7:8], v[44:45]
	v_fma_f64 v[154:155], v[54:55], s[36:37], -v[106:107]
	v_fma_f64 v[106:107], v[54:55], s[36:37], v[106:107]
	v_fma_f64 v[174:175], v[54:55], s[30:31], -v[116:117]
	v_fma_f64 v[116:117], v[54:55], s[30:31], v[116:117]
	v_fma_f64 v[176:177], v[54:55], s[26:27], v[120:121]
	;; [unrolled: 1-line block ×3, first 2 shown]
	v_fma_f64 v[120:121], v[54:55], s[26:27], -v[120:121]
	v_fma_f64 v[122:123], v[54:55], s[28:29], -v[122:123]
	v_fma_f64 v[180:181], v[54:55], s[34:35], v[11:12]
	v_fma_f64 v[11:12], v[54:55], s[34:35], -v[11:12]
	v_fma_f64 v[54:55], v[48:49], s[34:35], -v[124:125]
	v_fma_f64 v[124:125], v[48:49], s[34:35], v[124:125]
	v_fma_f64 v[182:183], v[48:49], s[26:27], -v[132:133]
	v_fma_f64 v[132:133], v[48:49], s[26:27], v[132:133]
	;; [unrolled: 2-line block ×5, first 2 shown]
	v_fma_f64 v[190:191], v[23:24], s[28:29], -v[138:139]
	v_add_f64 v[7:8], v[7:8], v[40:41]
	v_add_f64 v[48:49], v[4:5], v[154:155]
	;; [unrolled: 1-line block ×11, first 2 shown]
	v_mul_f64 v[11:12], v[13:14], s[14:15]
	v_fma_f64 v[13:14], v[23:24], s[30:31], -v[118:119]
	v_fma_f64 v[118:119], v[23:24], s[30:31], v[118:119]
	v_fma_f64 v[180:181], v[23:24], s[34:35], -v[130:131]
	v_fma_f64 v[130:131], v[23:24], s[34:35], v[130:131]
	v_fma_f64 v[138:139], v[23:24], s[28:29], v[138:139]
	v_fma_f64 v[192:193], v[23:24], s[36:37], -v[148:149]
	v_fma_f64 v[148:149], v[23:24], s[36:37], v[148:149]
	v_fma_f64 v[194:195], v[23:24], s[26:27], -v[15:16]
	v_fma_f64 v[15:16], v[23:24], s[26:27], v[15:16]
	v_mul_f64 v[134:135], v[9:10], s[14:15]
	v_add_f64 v[7:8], v[7:8], v[68:69]
	v_add_f64 v[23:24], v[54:55], v[48:49]
	;; [unrolled: 1-line block ×11, first 2 shown]
	v_mul_f64 v[142:143], v[9:10], s[22:23]
	v_mul_f64 v[9:10], v[9:10], s[20:21]
	v_fma_f64 v[132:133], v[21:22], s[28:29], -v[114:115]
	v_fma_f64 v[114:115], v[21:22], s[28:29], v[114:115]
	v_fma_f64 v[140:141], v[21:22], s[36:37], -v[128:129]
	v_fma_f64 v[128:129], v[21:22], s[36:37], v[128:129]
	;; [unrolled: 2-line block ×4, first 2 shown]
	v_fma_f64 v[174:175], v[21:22], s[30:31], -v[11:12]
	v_add_f64 v[7:8], v[7:8], v[70:71]
	v_fma_f64 v[11:12], v[21:22], s[30:31], v[11:12]
	v_add_f64 v[13:14], v[13:14], v[23:24]
	v_add_f64 v[21:22], v[118:119], v[48:49]
	v_add_f64 v[23:24], v[180:181], v[54:55]
	v_add_f64 v[48:49], v[130:131], v[106:107]
	v_add_f64 v[54:55], v[138:139], v[116:117]
	v_add_f64 v[106:107], v[148:149], v[124:125]
	v_add_f64 v[116:117], v[190:191], v[120:121]
	v_add_f64 v[118:119], v[192:193], v[122:123]
	v_add_f64 v[15:16], v[15:16], v[17:18]
	v_add_f64 v[4:5], v[194:195], v[4:5]
	v_fma_f64 v[17:18], v[19:20], s[26:27], -v[56:57]
	v_fma_f64 v[56:57], v[19:20], s[26:27], v[56:57]
	v_fma_f64 v[120:121], v[19:20], s[28:29], -v[126:127]
	v_fma_f64 v[122:123], v[19:20], s[28:29], v[126:127]
	;; [unrolled: 2-line block ×5, first 2 shown]
	v_add_f64 v[7:8], v[7:8], v[72:73]
	v_add_f64 v[13:14], v[132:133], v[13:14]
	;; [unrolled: 1-line block ×22, first 2 shown]
	v_mad_u32_u24 v11, 0x210, v98, 0
	v_add3_u32 v6, v11, v6, v172
	v_add_f64 v[7:8], v[7:8], v[60:61]
	v_add_f64 v[7:8], v[7:8], v[86:87]
	ds_write2_b64 v6, v[23:24], v[21:22] offset0:12 offset1:18
	ds_write2_b64 v6, v[19:20], v[15:16] offset0:24 offset1:30
	;; [unrolled: 1-line block ×4, first 2 shown]
	ds_write2_b64 v6, v[7:8], v[9:10] offset1:6
	ds_write_b64 v6, v[4:5] offset:480
.LBB0_18:
	s_or_b32 exec_lo, exec_lo, s1
	v_add_f64 v[4:5], v[0:1], v[112:113]
	v_add_f64 v[6:7], v[112:113], v[78:79]
	v_add_f64 v[8:9], v[156:157], -v[110:111]
	v_add_f64 v[10:11], v[104:105], v[80:81]
	v_add_f64 v[24:25], v[32:33], -v[28:29]
	v_add_f64 v[14:15], v[92:93], v[82:83]
	s_mov_b32 s39, 0x3fe82f19
	s_mov_b32 s38, s14
	v_add_f64 v[12:13], v[100:101], -v[108:109]
	v_add_f64 v[16:17], v[96:97], -v[102:103]
	;; [unrolled: 1-line block ×3, first 2 shown]
	v_add_f64 v[18:19], v[88:89], v[30:31]
	v_add_f64 v[22:23], v[84:85], v[26:27]
	v_lshlrev_b32_e32 v146, 3, v167
	v_add_nc_u32_e32 v56, 0x1000, v168
	v_add_nc_u32_e32 v91, 0x1400, v168
	;; [unrolled: 1-line block ×3, first 2 shown]
	v_add3_u32 v90, 0, v173, v172
	s_waitcnt lgkmcnt(0)
	s_barrier
	buffer_gl0_inv
	ds_read_b64 v[32:33], v169
	v_add_f64 v[4:5], v[4:5], v[104:105]
	v_mul_f64 v[28:29], v[6:7], s[34:35]
	v_mul_f64 v[48:49], v[6:7], s[28:29]
	;; [unrolled: 1-line block ×18, first 2 shown]
	v_add_f64 v[4:5], v[4:5], v[92:93]
	v_mul_f64 v[92:93], v[6:7], s[30:31]
	v_mul_f64 v[6:7], v[6:7], s[36:37]
	v_fma_f64 v[122:123], v[8:9], s[22:23], v[28:29]
	v_fma_f64 v[124:125], v[8:9], s[18:19], v[48:49]
	;; [unrolled: 1-line block ×17, first 2 shown]
	v_add_f64 v[4:5], v[4:5], v[88:89]
	v_fma_f64 v[128:129], v[8:9], s[38:39], v[92:93]
	v_fma_f64 v[92:93], v[8:9], s[14:15], v[92:93]
	;; [unrolled: 1-line block ×5, first 2 shown]
	v_mul_f64 v[88:89], v[14:15], s[26:27]
	v_mul_f64 v[14:15], v[14:15], s[30:31]
	v_add_f64 v[48:49], v[0:1], v[48:49]
	v_add_f64 v[54:55], v[0:1], v[54:55]
	v_mul_f64 v[28:29], v[22:23], s[30:31]
	v_add_f64 v[4:5], v[4:5], v[84:85]
	v_fma_f64 v[84:85], v[12:13], s[18:19], v[94:95]
	v_fma_f64 v[94:95], v[12:13], s[4:5], v[94:95]
	v_add_f64 v[12:13], v[0:1], v[122:123]
	v_add_f64 v[122:123], v[0:1], v[124:125]
	;; [unrolled: 1-line block ×8, first 2 shown]
	v_fma_f64 v[130:131], v[16:17], s[20:21], v[104:105]
	v_fma_f64 v[104:105], v[16:17], s[24:25], v[104:105]
	;; [unrolled: 1-line block ×4, first 2 shown]
	v_add_f64 v[48:49], v[96:97], v[48:49]
	v_mul_f64 v[8:9], v[22:23], s[28:29]
	v_mul_f64 v[22:23], v[22:23], s[26:27]
	v_add_f64 v[4:5], v[4:5], v[26:27]
	v_fma_f64 v[26:27], v[16:17], s[16:17], v[88:89]
	v_fma_f64 v[88:89], v[16:17], s[6:7], v[88:89]
	v_add_f64 v[12:13], v[84:85], v[12:13]
	v_add_f64 v[16:17], v[132:133], v[122:123]
	;; [unrolled: 1-line block ×9, first 2 shown]
	v_fma_f64 v[54:55], v[20:21], s[14:15], v[110:111]
	v_fma_f64 v[94:95], v[20:21], s[6:7], v[112:113]
	;; [unrolled: 1-line block ×8, first 2 shown]
	v_add_f64 v[4:5], v[4:5], v[30:31]
	v_fma_f64 v[30:31], v[20:21], s[38:39], v[110:111]
	v_fma_f64 v[110:111], v[20:21], s[22:23], v[114:115]
	v_add_f64 v[12:13], v[26:27], v[12:13]
	v_add_f64 v[16:17], v[130:131], v[16:17]
	;; [unrolled: 1-line block ×3, first 2 shown]
	v_fma_f64 v[114:115], v[20:21], s[24:25], v[116:117]
	v_fma_f64 v[116:117], v[20:21], s[20:21], v[116:117]
	v_add_f64 v[20:21], v[104:105], v[48:49]
	v_add_f64 v[48:49], v[142:143], v[96:97]
	;; [unrolled: 1-line block ×7, first 2 shown]
	v_fma_f64 v[102:103], v[24:25], s[10:11], v[120:121]
	v_fma_f64 v[106:107], v[24:25], s[38:39], v[28:29]
	;; [unrolled: 1-line block ×7, first 2 shown]
	v_add_f64 v[4:5], v[4:5], v[82:83]
	v_fma_f64 v[108:109], v[24:25], s[14:15], v[28:29]
	v_add_nc_u32_e32 v82, 0x1800, v168
	v_add_f64 v[128:129], v[30:31], v[12:13]
	v_add_f64 v[94:95], v[94:95], v[16:17]
	;; [unrolled: 1-line block ×3, first 2 shown]
	v_add_nc_u32_e32 v83, 0x1c00, v168
	v_add_f64 v[100:101], v[100:101], v[20:21]
	v_add_f64 v[48:49], v[114:115], v[48:49]
	;; [unrolled: 1-line block ×7, first 2 shown]
	v_add_nc_u32_e32 v84, 0x800, v168
	ds_read2_b64 v[16:19], v56 offset0:82 offset1:148
	v_add_f64 v[122:123], v[4:5], v[80:81]
	v_add3_u32 v80, 0, v146, v172
	v_add_nc_u32_e32 v81, 0xc00, v168
	ds_read2_b64 v[20:23], v91 offset0:86 offset1:152
	ds_read2_b64 v[4:7], v57 offset0:70 offset1:136
	;; [unrolled: 1-line block ×6, first 2 shown]
	v_add_f64 v[94:95], v[102:103], v[94:95]
	v_add_f64 v[102:103], v[106:107], v[110:111]
	;; [unrolled: 1-line block ×8, first 2 shown]
	ds_read_b64 v[0:1], v80
	ds_read_b64 v[48:49], v90
	ds_read_b64 v[54:55], v168 offset:8976
	v_add_f64 v[110:111], v[126:127], v[116:117]
	v_add_f64 v[108:109], v[108:109], v[112:113]
	s_waitcnt lgkmcnt(0)
	s_barrier
	buffer_gl0_inv
	v_add_f64 v[78:79], v[122:123], v[78:79]
	ds_write2_b64 v99, v[94:95], v[102:103] offset0:12 offset1:18
	ds_write2_b64 v99, v[104:105], v[92:93] offset0:24 offset1:30
	;; [unrolled: 1-line block ×4, first 2 shown]
	ds_write2_b64 v99, v[78:79], v[88:89] offset1:6
	ds_write_b64 v99, v[96:97] offset:480
	s_and_saveexec_b32 s33, s0
	s_cbranch_execz .LBB0_20
; %bb.19:
	v_add_f64 v[78:79], v[2:3], v[76:77]
	v_add_f64 v[76:77], v[76:77], v[36:37]
	v_add_f64 v[60:61], v[62:63], -v[60:61]
	s_mov_b32 s24, 0x8764f0ba
	s_mov_b32 s22, 0xd9c712b6
	;; [unrolled: 1-line block ×8, first 2 shown]
	v_add_f64 v[74:75], v[74:75], -v[86:87]
	v_add_f64 v[68:69], v[68:69], -v[70:71]
	s_mov_b32 s0, 0xf8bb580b
	s_mov_b32 s6, 0x8eee2c13
	;; [unrolled: 1-line block ×9, first 2 shown]
	v_add_f64 v[78:79], v[78:79], v[64:65]
	v_add_f64 v[64:65], v[64:65], v[34:35]
	v_mul_f64 v[70:71], v[76:77], s[24:25]
	v_mul_f64 v[85:86], v[76:77], s[18:19]
	;; [unrolled: 1-line block ×3, first 2 shown]
	s_mov_b32 s10, s6
	s_mov_b32 s21, 0xbfe82f19
	;; [unrolled: 1-line block ×10, first 2 shown]
	v_add_f64 v[40:41], v[40:41], -v[72:73]
	v_add_f64 v[72:73], v[52:53], v[46:47]
	v_add_f64 v[44:45], v[44:45], -v[58:59]
	v_add_f64 v[58:59], v[66:67], v[42:43]
	v_add_f64 v[62:63], v[78:79], v[50:51]
	v_mul_f64 v[78:79], v[76:77], s[22:23]
	v_mul_f64 v[76:77], v[76:77], s[34:35]
	v_add_f64 v[50:51], v[50:51], v[38:39]
	v_mul_f64 v[92:93], v[64:65], s[22:23]
	v_mul_f64 v[94:95], v[64:65], s[30:31]
	;; [unrolled: 1-line block ×5, first 2 shown]
	v_fma_f64 v[119:120], v[74:75], s[0:1], v[70:71]
	v_fma_f64 v[123:124], v[74:75], s[14:15], v[85:86]
	;; [unrolled: 1-line block ×5, first 2 shown]
	v_mul_f64 v[115:116], v[72:73], s[34:35]
	v_mul_f64 v[117:118], v[72:73], s[24:25]
	;; [unrolled: 1-line block ×6, first 2 shown]
	v_add_f64 v[62:63], v[62:63], v[66:67]
	v_fma_f64 v[121:122], v[74:75], s[6:7], v[78:79]
	v_fma_f64 v[78:79], v[74:75], s[10:11], v[78:79]
	;; [unrolled: 1-line block ×4, first 2 shown]
	v_mul_f64 v[66:67], v[50:51], s[18:19]
	v_mul_f64 v[101:102], v[50:51], s[34:35]
	;; [unrolled: 1-line block ×5, first 2 shown]
	v_fma_f64 v[129:130], v[60:61], s[38:39], v[94:95]
	v_fma_f64 v[94:95], v[60:61], s[20:21], v[94:95]
	;; [unrolled: 1-line block ×7, first 2 shown]
	v_add_f64 v[87:88], v[2:3], v[87:88]
	v_add_f64 v[85:86], v[2:3], v[85:86]
	v_mul_f64 v[58:59], v[58:59], s[22:23]
	v_add_f64 v[52:53], v[62:63], v[52:53]
	v_fma_f64 v[62:63], v[74:75], s[4:5], v[70:71]
	v_fma_f64 v[74:75], v[60:61], s[6:7], v[92:93]
	;; [unrolled: 1-line block ×4, first 2 shown]
	v_add_f64 v[64:65], v[2:3], v[119:120]
	v_add_f64 v[119:120], v[2:3], v[121:122]
	;; [unrolled: 1-line block ×7, first 2 shown]
	v_fma_f64 v[127:128], v[44:45], s[28:29], v[101:102]
	v_fma_f64 v[101:102], v[44:45], s[26:27], v[101:102]
	v_fma_f64 v[137:138], v[44:45], s[10:11], v[103:104]
	v_fma_f64 v[103:104], v[44:45], s[6:7], v[103:104]
	v_fma_f64 v[139:140], v[44:45], s[0:1], v[105:106]
	v_fma_f64 v[105:106], v[44:45], s[4:5], v[105:106]
	v_fma_f64 v[141:142], v[44:45], s[38:39], v[50:51]
	v_add_f64 v[87:88], v[99:100], v[87:88]
	v_mul_f64 v[70:71], v[72:73], s[30:31]
	v_add_f64 v[46:47], v[52:53], v[46:47]
	v_add_f64 v[2:3], v[2:3], v[62:63]
	v_fma_f64 v[62:63], v[44:45], s[14:15], v[66:67]
	v_fma_f64 v[66:67], v[44:45], s[16:17], v[66:67]
	v_fma_f64 v[44:45], v[44:45], s[20:21], v[50:51]
	v_add_f64 v[50:51], v[74:75], v[64:65]
	v_add_f64 v[64:65], v[129:130], v[119:120]
	;; [unrolled: 1-line block ×8, first 2 shown]
	v_mul_f64 v[52:53], v[72:73], s[22:23]
	v_fma_f64 v[85:86], v[40:41], s[20:21], v[107:108]
	v_fma_f64 v[96:97], v[40:41], s[14:15], v[109:110]
	;; [unrolled: 1-line block ×3, first 2 shown]
	v_add_f64 v[42:43], v[46:47], v[42:43]
	v_add_f64 v[2:3], v[92:93], v[2:3]
	v_mul_f64 v[46:47], v[72:73], s[18:19]
	v_fma_f64 v[72:73], v[40:41], s[38:39], v[107:108]
	v_fma_f64 v[92:93], v[40:41], s[16:17], v[109:110]
	;; [unrolled: 1-line block ×7, first 2 shown]
	v_add_f64 v[50:51], v[62:63], v[50:51]
	v_add_f64 v[58:59], v[127:128], v[64:65]
	;; [unrolled: 1-line block ×9, first 2 shown]
	v_fma_f64 v[76:77], v[68:69], s[4:5], v[117:118]
	v_fma_f64 v[99:100], v[68:69], s[38:39], v[70:71]
	;; [unrolled: 1-line block ×3, first 2 shown]
	v_add_f64 v[38:39], v[42:43], v[38:39]
	v_add_f64 v[2:3], v[66:67], v[2:3]
	v_fma_f64 v[42:43], v[68:69], s[26:27], v[115:116]
	v_fma_f64 v[66:67], v[68:69], s[28:29], v[115:116]
	;; [unrolled: 1-line block ×7, first 2 shown]
	v_add_f64 v[50:51], v[72:73], v[50:51]
	v_add_f64 v[58:59], v[92:93], v[58:59]
	;; [unrolled: 1-line block ×22, first 2 shown]
	v_mov_b32_e32 v36, 3
	v_mad_u32_u24 v37, 0x210, v98, 0
	v_lshlrev_b32_sdwa v36, v36, v151 dst_sel:DWORD dst_unused:UNUSED_PAD src0_sel:DWORD src1_sel:BYTE_0
	v_add3_u32 v36, v37, v36, v172
	ds_write2_b64 v36, v[42:43], v[58:59] offset0:12 offset1:18
	ds_write2_b64 v36, v[60:61], v[62:63] offset0:24 offset1:30
	;; [unrolled: 1-line block ×4, first 2 shown]
	ds_write2_b64 v36, v[34:35], v[38:39] offset1:6
	ds_write_b64 v36, v[2:3] offset:480
.LBB0_20:
	s_or_b32 exec_lo, exec_lo, s33
	v_and_b32_e32 v2, 0xff, v167
	v_mov_b32_e32 v34, 0xf83f
	v_mov_b32_e32 v151, 0
	;; [unrolled: 1-line block ×3, first 2 shown]
	s_waitcnt lgkmcnt(0)
	v_mul_lo_u16 v2, 0xf9, v2
	v_mul_u32_u24_sdwa v3, v160, v34 dst_sel:DWORD dst_unused:UNUSED_PAD src0_sel:WORD_0 src1_sel:DWORD
	v_mul_u32_u24_sdwa v89, v161, v34 dst_sel:DWORD dst_unused:UNUSED_PAD src0_sel:WORD_0 src1_sel:DWORD
	;; [unrolled: 1-line block ×4, first 2 shown]
	v_lshrrev_b16 v35, 14, v2
	v_lshrrev_b32_e32 v36, 22, v3
	v_lshlrev_b64 v[2:3], 4, v[150:151]
	v_mul_u32_u24_sdwa v44, v165, v34 dst_sel:DWORD dst_unused:UNUSED_PAD src0_sel:WORD_0 src1_sel:DWORD
	v_mul_u32_u24_sdwa v45, v170, v34 dst_sel:DWORD dst_unused:UNUSED_PAD src0_sel:WORD_0 src1_sel:DWORD
	v_mul_lo_u16 v35, 0x42, v35
	v_mul_lo_u16 v36, 0x42, v36
	v_lshrrev_b32_e32 v46, 22, v89
	v_add_co_u32 v2, s0, s8, v2
	v_sub_nc_u16 v119, v167, v35
	v_add_co_ci_u32_e64 v3, s0, s9, v3, s0
	v_lshrrev_b32_e32 v47, 22, v118
	s_barrier
	v_lshlrev_b32_sdwa v38, v42, v119 dst_sel:DWORD dst_unused:UNUSED_PAD src0_sel:DWORD src1_sel:BYTE_0
	buffer_gl0_inv
	v_sub_nc_u16 v120, v160, v36
	v_mov_b32_e32 v138, 3
	s_clause 0x1
	global_load_dwordx4 v[34:37], v[2:3], off offset:960
	global_load_dwordx4 v[38:41], v38, s[8:9] offset:960
	v_lshrrev_b32_e32 v2, 22, v43
	v_lshrrev_b32_e32 v3, 22, v44
	;; [unrolled: 1-line block ×3, first 2 shown]
	v_mul_lo_u16 v44, 0x42, v46
	v_mul_lo_u16 v45, 0x42, v47
	;; [unrolled: 1-line block ×5, first 2 shown]
	v_sub_nc_u16 v121, v161, v44
	v_sub_nc_u16 v122, v162, v45
	v_sub_nc_u16 v123, v163, v2
	v_sub_nc_u16 v124, v165, v3
	v_lshlrev_b32_sdwa v50, v42, v120 dst_sel:DWORD dst_unused:UNUSED_PAD src0_sel:DWORD src1_sel:WORD_0
	v_sub_nc_u16 v125, v170, v43
	v_lshlrev_b32_sdwa v2, v42, v121 dst_sel:DWORD dst_unused:UNUSED_PAD src0_sel:DWORD src1_sel:WORD_0
	v_lshlrev_b32_sdwa v3, v42, v122 dst_sel:DWORD dst_unused:UNUSED_PAD src0_sel:DWORD src1_sel:WORD_0
	v_lshlrev_b32_sdwa v43, v42, v123 dst_sel:DWORD dst_unused:UNUSED_PAD src0_sel:DWORD src1_sel:WORD_0
	v_lshlrev_b32_sdwa v44, v42, v124 dst_sel:DWORD dst_unused:UNUSED_PAD src0_sel:DWORD src1_sel:WORD_0
	v_lshlrev_b32_sdwa v42, v42, v125 dst_sel:DWORD dst_unused:UNUSED_PAD src0_sel:DWORD src1_sel:WORD_0
	s_clause 0x5
	global_load_dwordx4 v[50:53], v50, s[8:9] offset:960
	global_load_dwordx4 v[58:61], v2, s[8:9] offset:960
	;; [unrolled: 1-line block ×6, first 2 shown]
	ds_read_b64 v[2:3], v169
	ds_read2_b64 v[85:88], v56 offset0:82 offset1:148
	ds_read_b64 v[42:43], v80
	ds_read2_b64 v[92:95], v91 offset0:86 offset1:152
	ds_read2_b64 v[96:99], v57 offset0:70 offset1:136
	;; [unrolled: 1-line block ×6, first 2 shown]
	ds_read_b64 v[78:79], v90
	ds_read_b64 v[116:117], v168 offset:8976
	v_lshlrev_b32_sdwa v136, v138, v119 dst_sel:DWORD dst_unused:UNUSED_PAD src0_sel:DWORD src1_sel:BYTE_0
	v_lshlrev_b32_sdwa v137, v138, v120 dst_sel:DWORD dst_unused:UNUSED_PAD src0_sel:DWORD src1_sel:WORD_0
	v_lshrrev_b32_e32 v139, 23, v118
	v_lshlrev_b32_sdwa v140, v138, v121 dst_sel:DWORD dst_unused:UNUSED_PAD src0_sel:DWORD src1_sel:WORD_0
	v_lshlrev_b32_sdwa v141, v138, v122 dst_sel:DWORD dst_unused:UNUSED_PAD src0_sel:DWORD src1_sel:WORD_0
	;; [unrolled: 1-line block ×3, first 2 shown]
	v_add3_u32 v145, 0, v136, v172
	v_add3_u32 v146, 0, v137, v172
	v_lshlrev_b32_sdwa v143, v138, v124 dst_sel:DWORD dst_unused:UNUSED_PAD src0_sel:DWORD src1_sel:WORD_0
	v_lshlrev_b32_sdwa v144, v138, v125 dst_sel:DWORD dst_unused:UNUSED_PAD src0_sel:DWORD src1_sel:WORD_0
	v_lshlrev_b32_e32 v44, 1, v150
	v_mov_b32_e32 v45, v151
	v_lshlrev_b32_e32 v46, 1, v171
	v_mov_b32_e32 v47, v151
	v_lshrrev_b32_e32 v89, 23, v89
	s_waitcnt vmcnt(0) lgkmcnt(0)
	v_lshlrev_b64 v[44:45], 4, v[44:45]
	s_barrier
	v_lshlrev_b64 v[46:47], 4, v[46:47]
	buffer_gl0_inv
	s_mov_b32 s5, 0x3febb67a
	v_add_nc_u32_e32 v155, 0xc00, v90
	v_add_co_u32 v44, s0, s8, v44
	v_add_co_ci_u32_e64 v45, s0, s9, v45, s0
	v_add_co_u32 v46, s0, s8, v46
	v_add_co_ci_u32_e64 v47, s0, s9, v47, s0
	s_mov_b32 s0, 0xe8584caa
	s_mov_b32 s1, 0xbfebb67a
	;; [unrolled: 1-line block ×3, first 2 shown]
	v_mul_f64 v[118:119], v[85:86], v[36:37]
	v_mul_f64 v[120:121], v[87:88], v[36:37]
	;; [unrolled: 1-line block ×18, first 2 shown]
	v_fma_f64 v[16:17], v[16:17], v[34:35], v[118:119]
	v_fma_f64 v[18:19], v[18:19], v[34:35], v[120:121]
	v_fma_f64 v[20:21], v[20:21], v[38:39], v[122:123]
	v_fma_f64 v[85:86], v[85:86], v[34:35], -v[136:137]
	v_fma_f64 v[34:35], v[87:88], v[34:35], -v[36:37]
	;; [unrolled: 1-line block ×3, first 2 shown]
	v_add3_u32 v118, 0, v140, v172
	v_add3_u32 v119, 0, v141, v172
	;; [unrolled: 1-line block ×4, first 2 shown]
	v_fma_f64 v[22:23], v[22:23], v[50:51], v[124:125]
	v_fma_f64 v[24:25], v[24:25], v[58:59], v[126:127]
	;; [unrolled: 1-line block ×3, first 2 shown]
	v_fma_f64 v[38:39], v[94:95], v[50:51], -v[52:53]
	v_fma_f64 v[28:29], v[28:29], v[66:67], v[130:131]
	v_fma_f64 v[40:41], v[100:101], v[58:59], -v[60:61]
	v_fma_f64 v[30:31], v[30:31], v[70:71], v[132:133]
	;; [unrolled: 2-line block ×3, first 2 shown]
	v_fma_f64 v[52:53], v[108:109], v[66:67], -v[68:69]
	v_fma_f64 v[58:59], v[110:111], v[70:71], -v[72:73]
	;; [unrolled: 1-line block ×3, first 2 shown]
	v_add_f64 v[16:17], v[32:33], -v[16:17]
	v_add_f64 v[18:19], v[48:49], -v[18:19]
	;; [unrolled: 1-line block ×6, first 2 shown]
	v_add3_u32 v64, 0, v144, v172
	v_add_nc_u32_e32 v87, 0x800, v145
	v_add_nc_u32_e32 v88, 0x800, v146
	;; [unrolled: 1-line block ×3, first 2 shown]
	v_add_f64 v[22:23], v[4:5], -v[22:23]
	v_add_f64 v[24:25], v[6:7], -v[24:25]
	;; [unrolled: 1-line block ×12, first 2 shown]
	v_fma_f64 v[32:33], v[32:33], 2.0, -v[16:17]
	v_fma_f64 v[48:49], v[48:49], 2.0, -v[18:19]
	;; [unrolled: 1-line block ×3, first 2 shown]
	v_add_nc_u32_e32 v94, 0x2000, v64
	v_fma_f64 v[64:65], v[2:3], 2.0, -v[62:63]
	v_fma_f64 v[66:67], v[78:79], 2.0, -v[34:35]
	v_fma_f64 v[42:43], v[42:43], 2.0, -v[36:37]
	v_add_nc_u32_e32 v85, 0x1000, v119
	v_add_nc_u32_e32 v86, 0x1800, v120
	;; [unrolled: 1-line block ×3, first 2 shown]
	v_fma_f64 v[4:5], v[4:5], 2.0, -v[22:23]
	v_fma_f64 v[6:7], v[6:7], 2.0, -v[24:25]
	;; [unrolled: 1-line block ×12, first 2 shown]
	ds_write2_b64 v168, v[32:33], v[16:17] offset1:66
	ds_write2_b64 v168, v[48:49], v[18:19] offset0:132 offset1:198
	ds_write2_b64 v87, v[0:1], v[20:21] offset0:8 offset1:74
	;; [unrolled: 1-line block ×8, first 2 shown]
	v_mul_lo_u16 v48, 0x84, v89
	s_waitcnt lgkmcnt(0)
	s_barrier
	buffer_gl0_inv
	ds_read_b64 v[104:105], v169
	ds_read2_b64 v[0:3], v84 offset0:74 offset1:140
	ds_read2_b64 v[4:7], v91 offset0:86 offset1:152
	;; [unrolled: 1-line block ×4, first 2 shown]
	ds_read_b64 v[106:107], v80
	ds_read2_b64 v[16:19], v57 offset0:70 offset1:136
	ds_read2_b64 v[20:23], v56 offset0:82 offset1:148
	;; [unrolled: 1-line block ×3, first 2 shown]
	ds_read_b64 v[108:109], v90
	ds_read_b64 v[110:111], v168 offset:8976
	s_waitcnt lgkmcnt(0)
	s_barrier
	buffer_gl0_inv
	ds_write2_b64 v168, v[64:65], v[62:63] offset1:66
	ds_write2_b64 v168, v[66:67], v[34:35] offset0:132 offset1:198
	ds_write2_b64 v87, v[42:43], v[36:37] offset0:8 offset1:74
	;; [unrolled: 1-line block ×8, first 2 shown]
	v_mul_lo_u16 v50, 0x84, v139
	s_waitcnt lgkmcnt(0)
	s_barrier
	buffer_gl0_inv
	s_clause 0x1
	global_load_dwordx4 v[28:31], v[44:45], off offset:2032
	global_load_dwordx4 v[32:35], v[44:45], off offset:2016
	v_mov_b32_e32 v49, 5
	v_sub_nc_u16 v66, v161, v48
	s_clause 0x1
	global_load_dwordx4 v[36:39], v[46:47], off offset:2032
	global_load_dwordx4 v[40:43], v[46:47], off offset:2016
	v_sub_nc_u16 v67, v162, v50
	v_lshlrev_b32_sdwa v52, v49, v66 dst_sel:DWORD dst_unused:UNUSED_PAD src0_sel:DWORD src1_sel:WORD_0
	v_lshlrev_b32_sdwa v70, v138, v66 dst_sel:DWORD dst_unused:UNUSED_PAD src0_sel:DWORD src1_sel:WORD_0
	;; [unrolled: 1-line block ×3, first 2 shown]
	s_clause 0x3
	global_load_dwordx4 v[48:51], v52, s[8:9] offset:2016
	global_load_dwordx4 v[52:55], v52, s[8:9] offset:2032
	;; [unrolled: 1-line block ×4, first 2 shown]
	v_lshlrev_b32_sdwa v74, v138, v67 dst_sel:DWORD dst_unused:UNUSED_PAD src0_sel:DWORD src1_sel:WORD_0
	ds_read2_b64 v[66:69], v84 offset0:74 offset1:140
	v_add3_u32 v89, 0, v70, v172
	ds_read2_b64 v[70:73], v91 offset0:86 offset1:152
	ds_read2_b64 v[85:88], v82 offset0:90 offset1:156
	v_add3_u32 v154, 0, v74, v172
	ds_read2_b64 v[74:77], v81 offset0:78 offset1:144
	ds_read_b64 v[78:79], v169
	ds_read_b64 v[112:113], v80
	ds_read2_b64 v[92:95], v56 offset0:82 offset1:148
	ds_read2_b64 v[96:99], v57 offset0:70 offset1:136
	;; [unrolled: 1-line block ×3, first 2 shown]
	ds_read_b64 v[114:115], v90
	ds_read_b64 v[116:117], v168 offset:8976
	v_add_nc_u32_e32 v156, 0x1800, v89
	s_waitcnt vmcnt(0) lgkmcnt(0)
	v_add_nc_u32_e32 v157, 0x1800, v154
	s_barrier
	buffer_gl0_inv
	v_mul_f64 v[122:123], v[72:73], v[30:31]
	v_mul_f64 v[118:119], v[68:69], v[34:35]
	;; [unrolled: 1-line block ×24, first 2 shown]
	v_fma_f64 v[2:3], v[2:3], v[32:33], v[118:119]
	v_fma_f64 v[6:7], v[6:7], v[28:29], v[122:123]
	v_fma_f64 v[68:69], v[68:69], v[32:33], -v[120:121]
	v_fma_f64 v[72:73], v[72:73], v[28:29], -v[124:125]
	v_fma_f64 v[8:9], v[8:9], v[40:41], v[126:127]
	v_fma_f64 v[12:13], v[12:13], v[36:37], v[130:131]
	;; [unrolled: 1-line block ×8, first 2 shown]
	v_fma_f64 v[28:29], v[87:88], v[28:29], -v[30:31]
	v_fma_f64 v[30:31], v[92:93], v[40:41], -v[42:43]
	v_fma_f64 v[4:5], v[4:5], v[58:59], v[146:147]
	v_fma_f64 v[42:43], v[110:111], v[62:63], v[148:149]
	v_fma_f64 v[74:75], v[74:75], v[40:41], -v[128:129]
	v_fma_f64 v[85:86], v[85:86], v[36:37], -v[132:133]
	;; [unrolled: 1-line block ×8, first 2 shown]
	v_add_f64 v[50:51], v[104:105], v[2:3]
	v_add_f64 v[52:53], v[2:3], v[6:7]
	;; [unrolled: 1-line block ×6, first 2 shown]
	v_add_f64 v[54:55], v[68:69], -v[72:73]
	v_add_f64 v[102:103], v[20:21], v[24:25]
	v_add_f64 v[2:3], v[2:3], -v[6:7]
	v_add_f64 v[120:121], v[22:23], v[26:27]
	v_add_f64 v[62:63], v[108:109], v[8:9]
	;; [unrolled: 1-line block ×6, first 2 shown]
	v_add_f64 v[68:69], v[74:75], -v[85:86]
	v_add_f64 v[74:75], v[74:75], v[85:86]
	v_add_f64 v[92:93], v[32:33], -v[28:29]
	v_add_f64 v[94:95], v[112:113], v[32:33]
	v_add_f64 v[32:33], v[32:33], v[28:29]
	v_add_f64 v[110:111], v[30:31], -v[34:35]
	v_add_f64 v[30:31], v[30:31], v[34:35]
	v_add_f64 v[122:123], v[36:37], -v[38:39]
	v_add_f64 v[124:125], v[98:99], v[36:37]
	v_add_f64 v[36:37], v[36:37], v[38:39]
	v_add_f64 v[130:131], v[40:41], -v[48:49]
	v_add_f64 v[132:133], v[66:67], v[40:41]
	v_add_f64 v[40:41], v[40:41], v[48:49]
	v_add_f64 v[6:7], v[50:51], v[6:7]
	v_fma_f64 v[50:51], v[52:53], -0.5, v[104:105]
	v_add_f64 v[72:73], v[58:59], v[72:73]
	v_fma_f64 v[52:53], v[60:61], -0.5, v[78:79]
	v_fma_f64 v[58:59], v[64:65], -0.5, v[108:109]
	;; [unrolled: 1-line block ×3, first 2 shown]
	v_add_f64 v[100:101], v[16:17], v[20:21]
	v_fma_f64 v[16:17], v[102:103], -0.5, v[16:17]
	v_add_f64 v[118:119], v[18:19], v[22:23]
	v_fma_f64 v[18:19], v[120:121], -0.5, v[18:19]
	;; [unrolled: 2-line block ×3, first 2 shown]
	v_add_f64 v[8:9], v[8:9], -v[12:13]
	v_add_f64 v[10:11], v[10:11], -v[14:15]
	v_add_f64 v[20:21], v[20:21], -v[24:25]
	v_add_f64 v[22:23], v[22:23], -v[26:27]
	v_add_f64 v[4:5], v[4:5], -v[42:43]
	v_add_f64 v[12:13], v[62:63], v[12:13]
	v_fma_f64 v[62:63], v[74:75], -0.5, v[114:115]
	v_fma_f64 v[32:33], v[32:33], -0.5, v[112:113]
	;; [unrolled: 1-line block ×5, first 2 shown]
	v_fma_f64 v[66:67], v[54:55], s[0:1], v[50:51]
	v_fma_f64 v[50:51], v[54:55], s[4:5], v[50:51]
	v_add_f64 v[60:61], v[70:71], v[85:86]
	v_fma_f64 v[70:71], v[2:3], s[4:5], v[52:53]
	v_fma_f64 v[74:75], v[2:3], s[0:1], v[52:53]
	;; [unrolled: 1-line block ×4, first 2 shown]
	v_add_f64 v[14:15], v[76:77], v[14:15]
	v_fma_f64 v[54:55], v[92:93], s[0:1], v[64:65]
	v_fma_f64 v[58:59], v[92:93], s[4:5], v[64:65]
	v_add_f64 v[24:25], v[100:101], v[24:25]
	v_fma_f64 v[64:65], v[110:111], s[0:1], v[16:17]
	v_fma_f64 v[16:17], v[110:111], s[4:5], v[16:17]
	v_add_f64 v[26:27], v[118:119], v[26:27]
	v_fma_f64 v[68:69], v[122:123], s[0:1], v[18:19]
	v_fma_f64 v[18:19], v[122:123], s[4:5], v[18:19]
	v_add_f64 v[42:43], v[128:129], v[42:43]
	v_fma_f64 v[76:77], v[130:131], s[0:1], v[0:1]
	v_fma_f64 v[0:1], v[130:131], s[4:5], v[0:1]
	v_add_f64 v[28:29], v[94:95], v[28:29]
	v_fma_f64 v[78:79], v[8:9], s[4:5], v[62:63]
	v_fma_f64 v[62:63], v[8:9], s[0:1], v[62:63]
	v_fma_f64 v[85:86], v[10:11], s[4:5], v[32:33]
	v_fma_f64 v[32:33], v[10:11], s[0:1], v[32:33]
	;; [unrolled: 1-line block ×8, first 2 shown]
	ds_write2_b64 v168, v[6:7], v[66:67] offset1:132
	ds_write_b64 v168, v[50:51] offset:2112
	ds_write2_b64 v90, v[12:13], v[2:3] offset1:132
	ds_write_b64 v90, v[52:53] offset:2112
	ds_write2_b64 v81, v[14:15], v[54:55] offset0:12 offset1:144
	ds_write_b64 v168, v[58:59] offset:5280
	ds_write2_b64 v155, v[24:25], v[64:65] offset0:12 offset1:144
	;; [unrolled: 2-line block ×4, first 2 shown]
	ds_write_b64 v154, v[0:1] offset:8448
	s_waitcnt lgkmcnt(0)
	s_barrier
	buffer_gl0_inv
	ds_read_b64 v[52:53], v169
	ds_read2_b64 v[0:3], v84 offset0:74 offset1:140
	ds_read2_b64 v[24:27], v91 offset0:86 offset1:152
	;; [unrolled: 1-line block ×4, first 2 shown]
	ds_read_b64 v[54:55], v80
	ds_read2_b64 v[4:7], v57 offset0:70 offset1:136
	ds_read2_b64 v[16:19], v56 offset0:82 offset1:148
	;; [unrolled: 1-line block ×3, first 2 shown]
	ds_read_b64 v[56:57], v90
	ds_read_b64 v[58:59], v168 offset:8976
	v_add_f64 v[34:35], v[116:117], v[34:35]
	v_add_f64 v[38:39], v[124:125], v[38:39]
	;; [unrolled: 1-line block ×3, first 2 shown]
	s_waitcnt lgkmcnt(0)
	s_barrier
	buffer_gl0_inv
	ds_write2_b64 v168, v[72:73], v[70:71] offset1:132
	ds_write_b64 v168, v[74:75] offset:2112
	ds_write2_b64 v90, v[60:61], v[78:79] offset1:132
	ds_write_b64 v90, v[62:63] offset:2112
	ds_write2_b64 v81, v[28:29], v[85:86] offset0:12 offset1:144
	ds_write_b64 v168, v[32:33] offset:5280
	ds_write2_b64 v155, v[34:35], v[87:88] offset0:12 offset1:144
	;; [unrolled: 2-line block ×4, first 2 shown]
	ds_write_b64 v154, v[40:41] offset:8448
	s_waitcnt lgkmcnt(0)
	s_barrier
	buffer_gl0_inv
	s_and_saveexec_b32 s6, vcc_lo
	s_cbranch_execz .LBB0_22
; %bb.21:
	v_lshlrev_b32_e32 v28, 1, v162
	v_mov_b32_e32 v29, v151
	v_lshlrev_b32_e32 v30, 1, v161
	v_mov_b32_e32 v31, v151
	;; [unrolled: 2-line block ×3, first 2 shown]
	v_lshlrev_b64 v[28:29], 4, v[28:29]
	v_mad_u64_u32 v[123:124], null, s2, v150, 0
	v_mad_u64_u32 v[125:126], null, s2, v163, 0
	v_lshlrev_b64 v[50:51], 4, v[34:35]
	v_add_co_u32 v32, vcc_lo, s8, v28
	v_add_co_ci_u32_e32 v33, vcc_lo, s9, v29, vcc_lo
	v_lshlrev_b64 v[28:29], 4, v[30:31]
	v_add_co_u32 v30, vcc_lo, 0x1860, v32
	v_add_co_ci_u32_e32 v31, vcc_lo, 0, v33, vcc_lo
	v_mul_hi_u32 v135, 0xa57eb503, v159
	v_add_co_u32 v36, vcc_lo, s8, v28
	v_add_co_ci_u32_e32 v37, vcc_lo, s9, v29, vcc_lo
	v_add_co_u32 v28, vcc_lo, 0x1800, v32
	v_add_co_ci_u32_e32 v29, vcc_lo, 0, v33, vcc_lo
	;; [unrolled: 2-line block ×5, first 2 shown]
	s_clause 0x3
	global_load_dwordx4 v[36:39], v[28:29], off offset:96
	global_load_dwordx4 v[40:43], v[30:31], off offset:16
	;; [unrolled: 1-line block ×4, first 2 shown]
	v_add_co_u32 v50, vcc_lo, 0x1860, v64
	v_add_co_ci_u32_e32 v51, vcc_lo, 0, v65, vcc_lo
	v_add_co_u32 v60, vcc_lo, 0x1860, v46
	v_add_co_ci_u32_e32 v61, vcc_lo, 0, v47, vcc_lo
	;; [unrolled: 2-line block ×5, first 2 shown]
	s_clause 0x3
	global_load_dwordx4 v[68:71], v[46:47], off offset:96
	global_load_dwordx4 v[72:75], v[60:61], off offset:16
	;; [unrolled: 1-line block ×4, first 2 shown]
	v_lshlrev_b32_e32 v48, 1, v167
	v_mov_b32_e32 v49, v151
	v_mad_u64_u32 v[127:128], null, s2, v164, 0
	v_mul_hi_u32 v136, 0xa57eb503, v160
	v_mad_u64_u32 v[129:130], null, s2, v158, 0
	v_lshlrev_b64 v[48:49], 4, v[48:49]
	v_mad_u64_u32 v[131:132], null, s2, v165, 0
	v_mul_hi_u32 v137, 0xa57eb503, v161
	v_mad_u64_u32 v[133:134], null, s2, v166, 0
	v_add_co_u32 v66, vcc_lo, s8, v48
	v_add_co_ci_u32_e32 v67, vcc_lo, s9, v49, vcc_lo
	v_add_co_u32 v44, vcc_lo, 0x1800, v64
	v_add_co_ci_u32_e32 v45, vcc_lo, 0, v65, vcc_lo
	;; [unrolled: 2-line block ×4, first 2 shown]
	s_clause 0x3
	global_load_dwordx4 v[85:88], v[44:45], off offset:96
	global_load_dwordx4 v[91:94], v[50:51], off offset:16
	;; [unrolled: 1-line block ×4, first 2 shown]
	v_mul_hi_u32 v138, 0xa57eb503, v162
	ds_read_b64 v[60:61], v80
	ds_read_b64 v[64:65], v90
	ds_read_b64 v[89:90], v168 offset:8976
	ds_read_b64 v[62:63], v169
	v_mov_b32_e32 v80, v124
	v_mov_b32_e32 v124, v126
	v_lshrrev_b32_e32 v141, 8, v135
	v_mov_b32_e32 v126, v128
	v_lshrrev_b32_e32 v142, 8, v136
	v_mov_b32_e32 v128, v130
	v_mov_b32_e32 v130, v132
	v_lshrrev_b32_e32 v143, 8, v137
	v_mov_b32_e32 v132, v134
	v_lshrrev_b32_e32 v144, 8, v138
	v_add_nc_u32_e32 v95, 0x800, v168
	v_add_nc_u32_e32 v99, 0x1400, v168
	;; [unrolled: 1-line block ×7, first 2 shown]
	v_add_co_u32 v66, vcc_lo, s12, v152
	v_add_co_ci_u32_e32 v67, vcc_lo, s13, v153, vcc_lo
	ds_read2_b64 v[95:98], v95 offset0:74 offset1:140
	ds_read2_b64 v[99:102], v99 offset0:86 offset1:152
	;; [unrolled: 1-line block ×7, first 2 shown]
	s_waitcnt vmcnt(8)
	v_mul_f64 v[176:177], v[22:23], v[34:35]
	s_waitcnt lgkmcnt(2)
	v_mul_f64 v[34:35], v[113:114], v[34:35]
	s_waitcnt vmcnt(4)
	v_mad_u64_u32 v[134:135], null, s3, v150, v[80:81]
	v_mad_u64_u32 v[135:136], null, s3, v163, v[124:125]
	v_mad_u32_u24 v163, 0x318, v141, v159
	v_mad_u64_u32 v[136:137], null, s3, v164, v[126:127]
	v_mad_u32_u24 v164, 0x318, v142, v160
	v_mad_u64_u32 v[137:138], null, s3, v158, v[128:129]
	v_mad_u64_u32 v[138:139], null, s3, v165, v[130:131]
	v_mad_u32_u24 v165, 0x318, v143, v161
	v_mad_u64_u32 v[139:140], null, s3, v166, v[132:133]
	v_mad_u32_u24 v166, 0x318, v144, v162
	v_mad_u64_u32 v[140:141], null, s2, v163, 0
	v_add_nc_u32_e32 v167, 0x18c, v163
	v_add_nc_u32_e32 v168, 0x318, v163
	v_mad_u64_u32 v[142:143], null, s2, v164, 0
	v_add_nc_u32_e32 v169, 0x18c, v164
	v_add_nc_u32_e32 v170, 0x318, v164
	v_mad_u64_u32 v[144:145], null, s2, v165, 0
	v_add_nc_u32_e32 v171, 0x18c, v165
	v_mad_u64_u32 v[146:147], null, s2, v166, 0
	v_mov_b32_e32 v126, v135
	v_mov_b32_e32 v128, v136
	v_mad_u64_u32 v[135:136], null, s2, v167, 0
	v_mov_b32_e32 v130, v137
	v_mov_b32_e32 v132, v138
	v_mad_u64_u32 v[137:138], null, s2, v168, 0
	v_mad_u64_u32 v[148:149], null, s2, v169, 0
	v_mad_u64_u32 v[150:151], null, s2, v170, 0
	v_mov_b32_e32 v80, v141
	v_mov_b32_e32 v124, v134
	;; [unrolled: 1-line block ×3, first 2 shown]
	v_mad_u64_u32 v[152:153], null, s2, v171, 0
	v_mov_b32_e32 v139, v143
	v_add_nc_u32_e32 v172, 0x318, v165
	v_add_nc_u32_e32 v174, 0x318, v166
	v_mov_b32_e32 v141, v145
	v_add_nc_u32_e32 v173, 0x18c, v166
	v_mov_b32_e32 v143, v147
	v_mad_u64_u32 v[160:161], null, s3, v163, v[80:81]
	v_mov_b32_e32 v80, v136
	v_mov_b32_e32 v136, v138
	v_mad_u64_u32 v[138:139], null, s3, v164, v[139:140]
	v_mov_b32_e32 v139, v149
	v_mad_u64_u32 v[154:155], null, s2, v172, 0
	v_mad_u64_u32 v[158:159], null, s2, v174, 0
	v_mov_b32_e32 v145, v151
	v_mad_u64_u32 v[161:162], null, s3, v165, v[141:142]
	;; [unrolled: 3-line block ×3, first 2 shown]
	v_mad_u64_u32 v[163:164], null, s3, v167, v[80:81]
	v_mad_u64_u32 v[164:165], null, s3, v168, v[136:137]
	;; [unrolled: 1-line block ×5, first 2 shown]
	v_mov_b32_e32 v147, v155
	v_mov_b32_e32 v149, v159
	;; [unrolled: 1-line block ×5, first 2 shown]
	v_mad_u64_u32 v[168:169], null, s3, v172, v[147:148]
	v_mad_u64_u32 v[159:160], null, s3, v174, v[149:150]
	;; [unrolled: 1-line block ×3, first 2 shown]
	v_mov_b32_e32 v143, v138
	v_mov_b32_e32 v147, v162
	;; [unrolled: 1-line block ×7, first 2 shown]
	v_mul_f64 v[160:161], v[8:9], v[70:71]
	v_mul_f64 v[162:163], v[12:13], v[74:75]
	s_waitcnt lgkmcnt(1)
	v_mul_f64 v[70:71], v[115:116], v[70:71]
	s_waitcnt lgkmcnt(0)
	v_mul_f64 v[74:75], v[119:120], v[74:75]
	v_mul_f64 v[164:165], v[2:3], v[78:79]
	;; [unrolled: 1-line block ×9, first 2 shown]
	s_waitcnt vmcnt(1)
	v_mul_f64 v[182:183], v[10:11], v[46:47]
	s_waitcnt vmcnt(0)
	v_mul_f64 v[184:185], v[14:15], v[50:51]
	v_mul_f64 v[46:47], v[117:118], v[46:47]
	;; [unrolled: 1-line block ×9, first 2 shown]
	v_fma_f64 v[115:116], v[115:116], v[68:69], -v[160:161]
	v_fma_f64 v[119:120], v[119:120], v[72:73], -v[162:163]
	v_fma_f64 v[8:9], v[8:9], v[68:69], v[70:71]
	v_fma_f64 v[12:13], v[12:13], v[72:73], v[74:75]
	v_fma_f64 v[68:69], v[97:98], v[76:77], -v[164:165]
	v_fma_f64 v[70:71], v[101:102], v[81:82], -v[166:167]
	v_fma_f64 v[2:3], v[2:3], v[76:77], v[78:79]
	v_fma_f64 v[26:27], v[26:27], v[81:82], v[83:84]
	;; [unrolled: 1-line block ×4, first 2 shown]
	v_fma_f64 v[38:39], v[113:114], v[32:33], -v[176:177]
	v_fma_f64 v[18:19], v[18:19], v[28:29], v[30:31]
	v_fma_f64 v[30:31], v[117:118], v[44:45], -v[182:183]
	v_fma_f64 v[32:33], v[121:122], v[48:49], -v[184:185]
	v_fma_f64 v[10:11], v[10:11], v[44:45], v[46:47]
	v_fma_f64 v[34:35], v[14:15], v[48:49], v[50:51]
	v_fma_f64 v[72:73], v[99:100], v[36:37], -v[170:171]
	v_fma_f64 v[58:59], v[58:59], v[40:41], v[42:43]
	v_fma_f64 v[36:37], v[109:110], v[28:29], -v[174:175]
	v_fma_f64 v[22:23], v[107:108], v[85:86], -v[178:179]
	;; [unrolled: 1-line block ×3, first 2 shown]
	v_fma_f64 v[16:17], v[16:17], v[85:86], v[87:88]
	v_fma_f64 v[20:21], v[20:21], v[91:92], v[93:94]
	v_fma_f64 v[74:75], v[89:90], v[40:41], -v[172:173]
	v_add_f64 v[42:43], v[64:65], v[115:116]
	v_add_f64 v[46:47], v[8:9], v[12:13]
	;; [unrolled: 1-line block ×4, first 2 shown]
	v_add_f64 v[40:41], v[8:9], -v[12:13]
	v_add_f64 v[80:81], v[2:3], v[26:27]
	v_add_f64 v[8:9], v[56:57], v[8:9]
	;; [unrolled: 1-line block ×3, first 2 shown]
	v_add_f64 v[50:51], v[2:3], -v[26:27]
	v_add_f64 v[92:93], v[18:19], -v[76:77]
	v_add_f64 v[107:108], v[18:19], v[76:77]
	v_add_f64 v[101:102], v[30:31], v[32:33]
	;; [unrolled: 1-line block ×5, first 2 shown]
	v_add_f64 v[84:85], v[24:25], -v[58:59]
	v_add_f64 v[88:89], v[24:25], v[58:59]
	v_add_f64 v[24:25], v[36:37], v[38:39]
	;; [unrolled: 1-line block ×3, first 2 shown]
	v_add_f64 v[99:100], v[36:37], -v[38:39]
	v_add_f64 v[36:37], v[22:23], v[28:29]
	v_add_f64 v[18:19], v[16:17], v[20:21]
	;; [unrolled: 1-line block ×5, first 2 shown]
	v_lshlrev_b64 v[123:124], 4, v[123:124]
	v_add_f64 v[44:45], v[115:116], -v[119:120]
	v_add_f64 v[68:69], v[68:69], -v[70:71]
	v_add_f64 v[115:116], v[103:104], v[22:23]
	v_add_f64 v[117:118], v[22:23], -v[28:29]
	v_add_f64 v[121:122], v[10:11], -v[34:35]
	v_add_f64 v[22:23], v[60:61], v[30:31]
	v_add_f64 v[160:161], v[30:31], -v[32:33]
	v_add_f64 v[30:31], v[54:55], v[10:11]
	v_add_f64 v[10:11], v[42:43], v[119:120]
	v_fma_f64 v[42:43], v[46:47], -0.5, v[56:57]
	v_fma_f64 v[46:47], v[48:49], -0.5, v[62:63]
	;; [unrolled: 1-line block ×3, first 2 shown]
	v_add_f64 v[113:114], v[16:17], -v[20:21]
	v_add_f64 v[16:17], v[4:5], v[16:17]
	v_lshlrev_b64 v[125:126], 4, v[125:126]
	v_fma_f64 v[64:65], v[14:15], -0.5, v[64:65]
	v_lshlrev_b64 v[127:128], 4, v[127:128]
	v_add_co_u32 v123, vcc_lo, v66, v123
	v_fma_f64 v[56:57], v[101:102], -0.5, v[60:61]
	v_fma_f64 v[54:55], v[109:110], -0.5, v[54:55]
	v_add_co_ci_u32_e32 v124, vcc_lo, v67, v124, vcc_lo
	v_lshlrev_b64 v[129:130], 4, v[129:130]
	v_add_co_u32 v125, vcc_lo, v66, v125
	v_fma_f64 v[52:53], v[36:37], -0.5, v[103:104]
	v_fma_f64 v[62:63], v[88:89], -0.5, v[0:1]
	;; [unrolled: 1-line block ×3, first 2 shown]
	v_add_co_ci_u32_e32 v126, vcc_lo, v67, v126, vcc_lo
	v_lshlrev_b64 v[131:132], 4, v[131:132]
	v_add_co_u32 v127, vcc_lo, v66, v127
	v_add_co_ci_u32_e32 v128, vcc_lo, v67, v128, vcc_lo
	v_lshlrev_b64 v[133:134], 4, v[133:134]
	v_add_co_u32 v129, vcc_lo, v66, v129
	v_add_f64 v[72:73], v[72:73], -v[74:75]
	v_add_f64 v[8:9], v[8:9], v[12:13]
	v_add_f64 v[14:15], v[78:79], v[70:71]
	;; [unrolled: 1-line block ×4, first 2 shown]
	v_fma_f64 v[70:71], v[24:25], -0.5, v[105:106]
	v_fma_f64 v[74:75], v[107:108], -0.5, v[6:7]
	v_add_co_ci_u32_e32 v130, vcc_lo, v67, v130, vcc_lo
	v_fma_f64 v[60:61], v[82:83], -0.5, v[95:96]
	v_add_co_u32 v131, vcc_lo, v66, v131
	v_lshlrev_b64 v[139:140], 4, v[140:141]
	v_add_co_ci_u32_e32 v132, vcc_lo, v67, v132, vcc_lo
	v_add_co_u32 v133, vcc_lo, v66, v133
	v_lshlrev_b64 v[141:142], 4, v[142:143]
	v_add_co_ci_u32_e32 v134, vcc_lo, v67, v134, vcc_lo
	v_add_f64 v[18:19], v[97:98], v[38:39]
	v_fma_f64 v[38:39], v[50:51], s[4:5], v[46:47]
	v_fma_f64 v[36:37], v[68:69], s[0:1], v[48:49]
	v_lshlrev_b64 v[143:144], 4, v[144:145]
	v_add_co_u32 v139, vcc_lo, v66, v139
	v_add_f64 v[4:5], v[16:17], v[20:21]
	v_add_f64 v[22:23], v[22:23], v[32:33]
	;; [unrolled: 1-line block ×3, first 2 shown]
	v_fma_f64 v[34:35], v[50:51], s[0:1], v[46:47]
	v_fma_f64 v[32:33], v[68:69], s[4:5], v[48:49]
	v_add_co_ci_u32_e32 v140, vcc_lo, v67, v140, vcc_lo
	v_add_f64 v[6:7], v[115:116], v[28:29]
	v_fma_f64 v[30:31], v[40:41], s[4:5], v[64:65]
	v_fma_f64 v[28:29], v[44:45], s[0:1], v[42:43]
	v_lshlrev_b64 v[135:136], 4, v[135:136]
	v_add_co_u32 v141, vcc_lo, v66, v141
	v_fma_f64 v[26:27], v[40:41], s[0:1], v[64:65]
	v_fma_f64 v[24:25], v[44:45], s[4:5], v[42:43]
	v_add_co_ci_u32_e32 v142, vcc_lo, v67, v142, vcc_lo
	v_fma_f64 v[50:51], v[121:122], s[4:5], v[56:57]
	v_fma_f64 v[48:49], v[160:161], s[0:1], v[54:55]
	v_lshlrev_b64 v[137:138], 4, v[137:138]
	v_add_co_u32 v143, vcc_lo, v66, v143
	v_fma_f64 v[46:47], v[121:122], s[0:1], v[56:57]
	v_fma_f64 v[44:45], v[160:161], s[4:5], v[54:55]
	v_add_co_ci_u32_e32 v144, vcc_lo, v67, v144, vcc_lo
	v_fma_f64 v[42:43], v[113:114], s[0:1], v[52:53]
	v_fma_f64 v[54:55], v[113:114], s[4:5], v[52:53]
	;; [unrolled: 1-line block ×3, first 2 shown]
	v_lshlrev_b64 v[148:149], 4, v[148:149]
	v_add_co_u32 v135, vcc_lo, v66, v135
	v_fma_f64 v[40:41], v[117:118], s[4:5], v[0:1]
	v_add_f64 v[16:17], v[111:112], v[76:77]
	v_add_co_ci_u32_e32 v136, vcc_lo, v67, v136, vcc_lo
	v_lshlrev_b64 v[150:151], 4, v[150:151]
	v_add_co_u32 v137, vcc_lo, v66, v137
	v_mov_b32_e32 v155, v168
	v_add_co_ci_u32_e32 v138, vcc_lo, v67, v138, vcc_lo
	global_store_dwordx4 v[123:124], v[12:15], off
	v_fma_f64 v[12:13], v[72:73], s[4:5], v[62:63]
	v_fma_f64 v[56:57], v[72:73], s[0:1], v[62:63]
	;; [unrolled: 1-line block ×5, first 2 shown]
	v_lshlrev_b64 v[152:153], 4, v[152:153]
	v_add_co_u32 v148, vcc_lo, v66, v148
	v_add_f64 v[0:1], v[90:91], v[58:59]
	v_fma_f64 v[14:15], v[84:85], s[0:1], v[60:61]
	v_fma_f64 v[58:59], v[84:85], s[4:5], v[60:61]
	;; [unrolled: 1-line block ×3, first 2 shown]
	v_add_co_ci_u32_e32 v149, vcc_lo, v67, v149, vcc_lo
	v_lshlrev_b64 v[154:155], 4, v[154:155]
	v_add_co_u32 v150, vcc_lo, v66, v150
	v_mov_b32_e32 v157, v169
	v_add_co_ci_u32_e32 v151, vcc_lo, v67, v151, vcc_lo
	v_add_co_u32 v152, vcc_lo, v66, v152
	global_store_dwordx4 v[125:126], v[36:39], off
	global_store_dwordx4 v[127:128], v[32:35], off
	;; [unrolled: 1-line block ×12, first 2 shown]
	v_lshlrev_b64 v[4:5], 4, v[146:147]
	v_add_co_ci_u32_e32 v153, vcc_lo, v67, v153, vcc_lo
	v_add_co_u32 v6, vcc_lo, v66, v154
	v_lshlrev_b64 v[8:9], 4, v[156:157]
	v_add_co_ci_u32_e32 v7, vcc_lo, v67, v155, vcc_lo
	v_add_co_u32 v4, vcc_lo, v66, v4
	;; [unrolled: 3-line block ×3, first 2 shown]
	v_add_co_ci_u32_e32 v9, vcc_lo, v67, v9, vcc_lo
	v_add_co_u32 v10, vcc_lo, v66, v10
	v_add_co_ci_u32_e32 v11, vcc_lo, v67, v11, vcc_lo
	global_store_dwordx4 v[152:153], v[68:71], off
	global_store_dwordx4 v[6:7], v[60:63], off
	;; [unrolled: 1-line block ×5, first 2 shown]
.LBB0_22:
	s_endpgm
	.section	.rodata,"a",@progbits
	.p2align	6, 0x0
	.amdhsa_kernel fft_rtc_back_len1188_factors_6_11_2_3_3_wgs_198_tpt_66_halfLds_dp_ip_CI_sbrr_dirReg
		.amdhsa_group_segment_fixed_size 0
		.amdhsa_private_segment_fixed_size 0
		.amdhsa_kernarg_size 88
		.amdhsa_user_sgpr_count 6
		.amdhsa_user_sgpr_private_segment_buffer 1
		.amdhsa_user_sgpr_dispatch_ptr 0
		.amdhsa_user_sgpr_queue_ptr 0
		.amdhsa_user_sgpr_kernarg_segment_ptr 1
		.amdhsa_user_sgpr_dispatch_id 0
		.amdhsa_user_sgpr_flat_scratch_init 0
		.amdhsa_user_sgpr_private_segment_size 0
		.amdhsa_wavefront_size32 1
		.amdhsa_uses_dynamic_stack 0
		.amdhsa_system_sgpr_private_segment_wavefront_offset 0
		.amdhsa_system_sgpr_workgroup_id_x 1
		.amdhsa_system_sgpr_workgroup_id_y 0
		.amdhsa_system_sgpr_workgroup_id_z 0
		.amdhsa_system_sgpr_workgroup_info 0
		.amdhsa_system_vgpr_workitem_id 0
		.amdhsa_next_free_vgpr 237
		.amdhsa_next_free_sgpr 40
		.amdhsa_reserve_vcc 1
		.amdhsa_reserve_flat_scratch 0
		.amdhsa_float_round_mode_32 0
		.amdhsa_float_round_mode_16_64 0
		.amdhsa_float_denorm_mode_32 3
		.amdhsa_float_denorm_mode_16_64 3
		.amdhsa_dx10_clamp 1
		.amdhsa_ieee_mode 1
		.amdhsa_fp16_overflow 0
		.amdhsa_workgroup_processor_mode 1
		.amdhsa_memory_ordered 1
		.amdhsa_forward_progress 0
		.amdhsa_shared_vgpr_count 0
		.amdhsa_exception_fp_ieee_invalid_op 0
		.amdhsa_exception_fp_denorm_src 0
		.amdhsa_exception_fp_ieee_div_zero 0
		.amdhsa_exception_fp_ieee_overflow 0
		.amdhsa_exception_fp_ieee_underflow 0
		.amdhsa_exception_fp_ieee_inexact 0
		.amdhsa_exception_int_div_zero 0
	.end_amdhsa_kernel
	.text
.Lfunc_end0:
	.size	fft_rtc_back_len1188_factors_6_11_2_3_3_wgs_198_tpt_66_halfLds_dp_ip_CI_sbrr_dirReg, .Lfunc_end0-fft_rtc_back_len1188_factors_6_11_2_3_3_wgs_198_tpt_66_halfLds_dp_ip_CI_sbrr_dirReg
                                        ; -- End function
	.section	.AMDGPU.csdata,"",@progbits
; Kernel info:
; codeLenInByte = 16796
; NumSgprs: 42
; NumVgprs: 237
; ScratchSize: 0
; MemoryBound: 1
; FloatMode: 240
; IeeeMode: 1
; LDSByteSize: 0 bytes/workgroup (compile time only)
; SGPRBlocks: 5
; VGPRBlocks: 29
; NumSGPRsForWavesPerEU: 42
; NumVGPRsForWavesPerEU: 237
; Occupancy: 4
; WaveLimiterHint : 1
; COMPUTE_PGM_RSRC2:SCRATCH_EN: 0
; COMPUTE_PGM_RSRC2:USER_SGPR: 6
; COMPUTE_PGM_RSRC2:TRAP_HANDLER: 0
; COMPUTE_PGM_RSRC2:TGID_X_EN: 1
; COMPUTE_PGM_RSRC2:TGID_Y_EN: 0
; COMPUTE_PGM_RSRC2:TGID_Z_EN: 0
; COMPUTE_PGM_RSRC2:TIDIG_COMP_CNT: 0
	.text
	.p2alignl 6, 3214868480
	.fill 48, 4, 3214868480
	.type	__hip_cuid_e6c37e477c620b9e,@object ; @__hip_cuid_e6c37e477c620b9e
	.section	.bss,"aw",@nobits
	.globl	__hip_cuid_e6c37e477c620b9e
__hip_cuid_e6c37e477c620b9e:
	.byte	0                               ; 0x0
	.size	__hip_cuid_e6c37e477c620b9e, 1

	.ident	"AMD clang version 19.0.0git (https://github.com/RadeonOpenCompute/llvm-project roc-6.4.0 25133 c7fe45cf4b819c5991fe208aaa96edf142730f1d)"
	.section	".note.GNU-stack","",@progbits
	.addrsig
	.addrsig_sym __hip_cuid_e6c37e477c620b9e
	.amdgpu_metadata
---
amdhsa.kernels:
  - .args:
      - .actual_access:  read_only
        .address_space:  global
        .offset:         0
        .size:           8
        .value_kind:     global_buffer
      - .offset:         8
        .size:           8
        .value_kind:     by_value
      - .actual_access:  read_only
        .address_space:  global
        .offset:         16
        .size:           8
        .value_kind:     global_buffer
      - .actual_access:  read_only
        .address_space:  global
        .offset:         24
        .size:           8
        .value_kind:     global_buffer
      - .offset:         32
        .size:           8
        .value_kind:     by_value
      - .actual_access:  read_only
        .address_space:  global
        .offset:         40
        .size:           8
        .value_kind:     global_buffer
      - .actual_access:  read_only
        .address_space:  global
        .offset:         48
        .size:           8
        .value_kind:     global_buffer
      - .offset:         56
        .size:           4
        .value_kind:     by_value
      - .actual_access:  read_only
        .address_space:  global
        .offset:         64
        .size:           8
        .value_kind:     global_buffer
      - .actual_access:  read_only
        .address_space:  global
        .offset:         72
        .size:           8
        .value_kind:     global_buffer
      - .address_space:  global
        .offset:         80
        .size:           8
        .value_kind:     global_buffer
    .group_segment_fixed_size: 0
    .kernarg_segment_align: 8
    .kernarg_segment_size: 88
    .language:       OpenCL C
    .language_version:
      - 2
      - 0
    .max_flat_workgroup_size: 198
    .name:           fft_rtc_back_len1188_factors_6_11_2_3_3_wgs_198_tpt_66_halfLds_dp_ip_CI_sbrr_dirReg
    .private_segment_fixed_size: 0
    .sgpr_count:     42
    .sgpr_spill_count: 0
    .symbol:         fft_rtc_back_len1188_factors_6_11_2_3_3_wgs_198_tpt_66_halfLds_dp_ip_CI_sbrr_dirReg.kd
    .uniform_work_group_size: 1
    .uses_dynamic_stack: false
    .vgpr_count:     237
    .vgpr_spill_count: 0
    .wavefront_size: 32
    .workgroup_processor_mode: 1
amdhsa.target:   amdgcn-amd-amdhsa--gfx1030
amdhsa.version:
  - 1
  - 2
...

	.end_amdgpu_metadata
